;; amdgpu-corpus repo=ROCm/rocFFT kind=compiled arch=gfx950 opt=O3
	.text
	.amdgcn_target "amdgcn-amd-amdhsa--gfx950"
	.amdhsa_code_object_version 6
	.protected	bluestein_single_fwd_len975_dim1_half_op_CI_CI ; -- Begin function bluestein_single_fwd_len975_dim1_half_op_CI_CI
	.globl	bluestein_single_fwd_len975_dim1_half_op_CI_CI
	.p2align	8
	.type	bluestein_single_fwd_len975_dim1_half_op_CI_CI,@function
bluestein_single_fwd_len975_dim1_half_op_CI_CI: ; @bluestein_single_fwd_len975_dim1_half_op_CI_CI
; %bb.0:
	s_load_dwordx4 s[12:15], s[0:1], 0x28
	v_mul_u32_u24_e32 v1, 0x691, v0
	v_lshrrev_b32_e32 v2, 16, v1
	v_mad_u64_u32 v[44:45], s[2:3], s2, 3, v[2:3]
	v_mov_b32_e32 v43, 0
	v_mov_b32_e32 v45, v43
	s_waitcnt lgkmcnt(0)
	v_cmp_gt_u64_e32 vcc, s[12:13], v[44:45]
	s_and_saveexec_b64 s[2:3], vcc
	s_cbranch_execz .LBB0_23
; %bb.1:
	s_load_dwordx4 s[4:7], s[0:1], 0x18
	s_load_dwordx2 s[12:13], s[0:1], 0x0
	v_mul_lo_u16_e32 v1, 39, v2
	v_sub_u16_e32 v42, v0, v1
	v_mov_b32_e32 v4, s14
	s_waitcnt lgkmcnt(0)
	s_load_dwordx4 s[8:11], s[4:5], 0x0
	v_mov_b32_e32 v5, s15
	v_lshlrev_b32_e32 v46, 2, v42
	global_load_dword v100, v46, s[12:13]
	s_mov_b32 s4, 0xaaaaaaab
	s_waitcnt lgkmcnt(0)
	v_mad_u64_u32 v[0:1], s[2:3], s10, v44, 0
	v_mov_b32_e32 v2, v1
	v_mad_u64_u32 v[2:3], s[2:3], s11, v44, v[2:3]
	v_mov_b32_e32 v1, v2
	;; [unrolled: 2-line block ×3, first 2 shown]
	v_mad_u64_u32 v[6:7], s[2:3], s9, v42, v[6:7]
	s_mul_i32 s2, s9, 0x4b
	s_mul_hi_u32 s3, s8, 0x4b
	v_mov_b32_e32 v3, v6
	v_lshl_add_u64 v[0:1], v[0:1], 2, v[4:5]
	s_add_i32 s3, s3, s2
	s_mul_i32 s2, s8, 0x4b
	v_lshl_add_u64 v[0:1], v[2:3], 2, v[0:1]
	s_lshl_b64 s[2:3], s[2:3], 2
	global_load_dword v2, v[0:1], off
	v_lshl_add_u64 v[0:1], v[0:1], 0, s[2:3]
	global_load_dword v3, v[0:1], off
	global_load_dword v99, v46, s[12:13] offset:300
	v_lshl_add_u64 v[0:1], v[0:1], 0, s[2:3]
	global_load_dword v4, v[0:1], off
	global_load_dword v98, v46, s[12:13] offset:600
	;; [unrolled: 3-line block ×9, first 2 shown]
	v_lshl_add_u64 v[0:1], v[0:1], 0, s[2:3]
	v_mul_hi_u32 v12, v44, s4
	s_load_dwordx4 s[4:7], s[6:7], 0x0
	global_load_dword v13, v[0:1], off
	global_load_dword v90, v46, s[12:13] offset:3000
	v_lshrrev_b32_e32 v12, 1, v12
	v_lshl_add_u32 v12, v12, 1, v12
	v_sub_u32_e32 v12, v44, v12
	v_lshl_add_u64 v[0:1], v[0:1], 0, s[2:3]
	v_mul_u32_u24_e32 v82, 0x3cf, v12
	global_load_dword v12, v[0:1], off
	global_load_dword v89, v46, s[12:13] offset:3300
	global_load_dword v88, v46, s[12:13] offset:3600
	v_lshl_add_u64 v[0:1], v[0:1], 0, s[2:3]
	global_load_dword v14, v[0:1], off
	v_lshlrev_b32_e32 v101, 2, v82
	v_add_u32_e32 v45, v46, v101
	s_load_dwordx2 s[10:11], s[0:1], 0x38
	v_mov_b32_e32 v47, v43
	v_lshl_add_u64 v[40:41], s[12:13], 0, v[46:47]
	v_cmp_gt_u16_e32 vcc, 36, v42
	s_waitcnt vmcnt(24)
	v_lshrrev_b32_e32 v15, 16, v2
	v_mul_f16_sdwa v16, v100, v2 dst_sel:DWORD dst_unused:UNUSED_PAD src0_sel:WORD_1 src1_sel:DWORD
	v_mul_f16_sdwa v17, v100, v15 dst_sel:DWORD dst_unused:UNUSED_PAD src0_sel:WORD_1 src1_sel:DWORD
	v_fma_f16 v15, v100, v15, -v16
	s_waitcnt vmcnt(23)
	v_lshrrev_b32_e32 v16, 16, v3
	s_waitcnt vmcnt(22)
	v_mul_f16_sdwa v18, v99, v3 dst_sel:DWORD dst_unused:UNUSED_PAD src0_sel:WORD_1 src1_sel:DWORD
	v_fma_f16 v2, v100, v2, v17
	v_mul_f16_sdwa v17, v99, v16 dst_sel:DWORD dst_unused:UNUSED_PAD src0_sel:WORD_1 src1_sel:DWORD
	v_fma_f16 v16, v99, v16, -v18
	s_waitcnt vmcnt(21)
	v_lshrrev_b32_e32 v18, 16, v4
	s_waitcnt vmcnt(20)
	v_mul_f16_sdwa v19, v98, v4 dst_sel:DWORD dst_unused:UNUSED_PAD src0_sel:WORD_1 src1_sel:DWORD
	v_pack_b32_f16 v2, v2, v15
	v_fma_f16 v3, v99, v3, v17
	v_mul_f16_sdwa v15, v98, v18 dst_sel:DWORD dst_unused:UNUSED_PAD src0_sel:WORD_1 src1_sel:DWORD
	v_fma_f16 v17, v98, v18, -v19
	s_waitcnt vmcnt(19)
	v_lshrrev_b32_e32 v18, 16, v5
	s_waitcnt vmcnt(18)
	v_mul_f16_sdwa v19, v97, v5 dst_sel:DWORD dst_unused:UNUSED_PAD src0_sel:WORD_1 src1_sel:DWORD
	v_pack_b32_f16 v3, v3, v16
	v_fma_f16 v4, v98, v4, v15
	v_mul_f16_sdwa v15, v97, v18 dst_sel:DWORD dst_unused:UNUSED_PAD src0_sel:WORD_1 src1_sel:DWORD
	v_fma_f16 v16, v97, v18, -v19
	ds_write2_b32 v45, v2, v3 offset1:75
	v_fma_f16 v3, v97, v5, v15
	s_waitcnt vmcnt(17)
	v_lshrrev_b32_e32 v18, 16, v6
	v_pack_b32_f16 v2, v4, v17
	v_pack_b32_f16 v3, v3, v16
	ds_write2_b32 v45, v2, v3 offset0:150 offset1:225
	s_waitcnt vmcnt(16)
	v_mul_f16_sdwa v2, v96, v18 dst_sel:DWORD dst_unused:UNUSED_PAD src0_sel:WORD_1 src1_sel:DWORD
	v_mul_f16_sdwa v3, v96, v6 dst_sel:DWORD dst_unused:UNUSED_PAD src0_sel:WORD_1 src1_sel:DWORD
	v_fma_f16 v2, v96, v6, v2
	v_fma_f16 v3, v96, v18, -v3
	v_pack_b32_f16 v3, v2, v3
	s_waitcnt vmcnt(15)
	v_lshrrev_b32_e32 v2, 16, v7
	s_waitcnt vmcnt(14)
	v_mul_f16_sdwa v4, v95, v2 dst_sel:DWORD dst_unused:UNUSED_PAD src0_sel:WORD_1 src1_sel:DWORD
	v_mul_f16_sdwa v5, v95, v7 dst_sel:DWORD dst_unused:UNUSED_PAD src0_sel:WORD_1 src1_sel:DWORD
	v_fma_f16 v4, v95, v7, v4
	v_fma_f16 v2, v95, v2, -v5
	v_pack_b32_f16 v4, v4, v2
	v_add_u32_e32 v2, 0x400, v45
	ds_write2_b32 v2, v3, v4 offset0:44 offset1:119
	s_waitcnt vmcnt(13)
	v_lshrrev_b32_e32 v3, 16, v8
	s_waitcnt vmcnt(12)
	v_mul_f16_sdwa v4, v94, v3 dst_sel:DWORD dst_unused:UNUSED_PAD src0_sel:WORD_1 src1_sel:DWORD
	v_mul_f16_sdwa v5, v94, v8 dst_sel:DWORD dst_unused:UNUSED_PAD src0_sel:WORD_1 src1_sel:DWORD
	v_fma_f16 v4, v94, v8, v4
	v_fma_f16 v3, v94, v3, -v5
	v_pack_b32_f16 v4, v4, v3
	s_waitcnt vmcnt(11)
	v_lshrrev_b32_e32 v3, 16, v9
	s_waitcnt vmcnt(10)
	v_mul_f16_sdwa v5, v93, v3 dst_sel:DWORD dst_unused:UNUSED_PAD src0_sel:WORD_1 src1_sel:DWORD
	v_mul_f16_sdwa v6, v93, v9 dst_sel:DWORD dst_unused:UNUSED_PAD src0_sel:WORD_1 src1_sel:DWORD
	v_fma_f16 v5, v93, v9, v5
	v_fma_f16 v3, v93, v3, -v6
	v_pack_b32_f16 v5, v5, v3
	v_add_u32_e32 v3, 0x600, v45
	ds_write2_b32 v3, v4, v5 offset0:66 offset1:141
	s_waitcnt vmcnt(9)
	v_lshrrev_b32_e32 v4, 16, v10
	;; [unrolled: 18-line block ×4, first 2 shown]
	v_mul_f16_sdwa v7, v88, v6 dst_sel:DWORD dst_unused:UNUSED_PAD src0_sel:WORD_1 src1_sel:DWORD
	v_mul_f16_sdwa v8, v88, v14 dst_sel:DWORD dst_unused:UNUSED_PAD src0_sel:WORD_1 src1_sel:DWORD
	v_fma_f16 v7, v88, v14, v7
	v_fma_f16 v6, v88, v6, -v8
	v_pack_b32_f16 v6, v7, v6
	ds_write_b32 v45, v6 offset:3600
	s_and_saveexec_b64 s[14:15], vcc
	s_cbranch_execz .LBB0_3
; %bb.2:
	v_mov_b32_e32 v6, 0xfffff28c
	s_mulk_i32 s9, 0xf28c
	v_mad_u64_u32 v[0:1], s[16:17], s8, v6, v[0:1]
	s_sub_i32 s8, s9, s8
	v_add_u32_e32 v1, s8, v1
	global_load_dword v6, v[0:1], off
	global_load_dword v7, v[40:41], off offset:156
	v_lshl_add_u64 v[0:1], v[0:1], 0, s[2:3]
	global_load_dword v8, v[0:1], off
	global_load_dword v9, v[40:41], off offset:456
	v_lshl_add_u64 v[0:1], v[0:1], 0, s[2:3]
	;; [unrolled: 3-line block ×12, first 2 shown]
	global_load_dword v0, v[0:1], off
	v_add_u32_e32 v30, 0x200, v45
	global_load_dword v31, v[40:41], off offset:3756
	s_waitcnt vmcnt(25)
	v_lshrrev_b32_e32 v1, 16, v6
	s_waitcnt vmcnt(24)
	v_mul_f16_sdwa v32, v7, v6 dst_sel:DWORD dst_unused:UNUSED_PAD src0_sel:WORD_1 src1_sel:DWORD
	v_mul_f16_sdwa v33, v7, v1 dst_sel:DWORD dst_unused:UNUSED_PAD src0_sel:WORD_1 src1_sel:DWORD
	v_fma_f16 v1, v7, v1, -v32
	s_waitcnt vmcnt(23)
	v_lshrrev_b32_e32 v32, 16, v8
	s_waitcnt vmcnt(22)
	v_mul_f16_sdwa v34, v9, v8 dst_sel:DWORD dst_unused:UNUSED_PAD src0_sel:WORD_1 src1_sel:DWORD
	v_fma_f16 v6, v7, v6, v33
	v_mul_f16_sdwa v7, v9, v32 dst_sel:DWORD dst_unused:UNUSED_PAD src0_sel:WORD_1 src1_sel:DWORD
	s_waitcnt vmcnt(21)
	v_lshrrev_b32_e32 v33, 16, v10
	v_fma_f16 v32, v9, v32, -v34
	s_waitcnt vmcnt(20)
	v_mul_f16_sdwa v34, v11, v10 dst_sel:DWORD dst_unused:UNUSED_PAD src0_sel:WORD_1 src1_sel:DWORD
	v_pack_b32_f16 v1, v6, v1
	v_fma_f16 v6, v9, v8, v7
	v_mul_f16_sdwa v7, v11, v33 dst_sel:DWORD dst_unused:UNUSED_PAD src0_sel:WORD_1 src1_sel:DWORD
	s_waitcnt vmcnt(19)
	v_lshrrev_b32_e32 v9, 16, v12
	v_fma_f16 v8, v11, v33, -v34
	s_waitcnt vmcnt(18)
	v_mul_f16_sdwa v33, v13, v12 dst_sel:DWORD dst_unused:UNUSED_PAD src0_sel:WORD_1 src1_sel:DWORD
	v_pack_b32_f16 v6, v6, v32
	v_fma_f16 v7, v11, v10, v7
	v_mul_f16_sdwa v10, v13, v9 dst_sel:DWORD dst_unused:UNUSED_PAD src0_sel:WORD_1 src1_sel:DWORD
	s_waitcnt vmcnt(17)
	v_lshrrev_b32_e32 v11, 16, v14
	s_waitcnt vmcnt(16)
	v_mul_f16_sdwa v32, v15, v14 dst_sel:DWORD dst_unused:UNUSED_PAD src0_sel:WORD_1 src1_sel:DWORD
	v_fma_f16 v9, v13, v9, -v33
	ds_write2_b32 v45, v1, v6 offset0:39 offset1:114
	v_pack_b32_f16 v1, v7, v8
	v_fma_f16 v6, v13, v12, v10
	v_mul_f16_sdwa v7, v15, v11 dst_sel:DWORD dst_unused:UNUSED_PAD src0_sel:WORD_1 src1_sel:DWORD
	v_fma_f16 v8, v15, v11, -v32
	s_waitcnt vmcnt(15)
	v_lshrrev_b32_e32 v10, 16, v16
	s_waitcnt vmcnt(14)
	v_mul_f16_sdwa v11, v17, v16 dst_sel:DWORD dst_unused:UNUSED_PAD src0_sel:WORD_1 src1_sel:DWORD
	v_pack_b32_f16 v6, v6, v9
	v_fma_f16 v7, v15, v14, v7
	v_mul_f16_sdwa v9, v17, v10 dst_sel:DWORD dst_unused:UNUSED_PAD src0_sel:WORD_1 src1_sel:DWORD
	v_fma_f16 v10, v17, v10, -v11
	s_waitcnt vmcnt(13)
	v_lshrrev_b32_e32 v11, 16, v18
	s_waitcnt vmcnt(12)
	v_mul_f16_sdwa v12, v19, v18 dst_sel:DWORD dst_unused:UNUSED_PAD src0_sel:WORD_1 src1_sel:DWORD
	ds_write2_b32 v30, v1, v6 offset0:61 offset1:136
	v_pack_b32_f16 v1, v7, v8
	v_fma_f16 v6, v17, v16, v9
	v_mul_f16_sdwa v7, v19, v11 dst_sel:DWORD dst_unused:UNUSED_PAD src0_sel:WORD_1 src1_sel:DWORD
	v_fma_f16 v8, v19, v11, -v12
	s_waitcnt vmcnt(11)
	v_lshrrev_b32_e32 v9, 16, v20
	v_pack_b32_f16 v6, v6, v10
	v_fma_f16 v7, v19, v18, v7
	s_waitcnt vmcnt(10)
	v_mul_f16_sdwa v10, v21, v9 dst_sel:DWORD dst_unused:UNUSED_PAD src0_sel:WORD_1 src1_sel:DWORD
	ds_write2_b32 v2, v1, v6 offset0:83 offset1:158
	v_pack_b32_f16 v1, v7, v8
	v_mul_f16_sdwa v7, v21, v20 dst_sel:DWORD dst_unused:UNUSED_PAD src0_sel:WORD_1 src1_sel:DWORD
	v_fma_f16 v6, v21, v20, v10
	v_fma_f16 v7, v21, v9, -v7
	v_pack_b32_f16 v6, v6, v7
	ds_write2_b32 v3, v1, v6 offset0:105 offset1:180
	s_waitcnt vmcnt(9)
	v_lshrrev_b32_e32 v1, 16, v22
	s_waitcnt vmcnt(8)
	v_mul_f16_sdwa v6, v23, v1 dst_sel:DWORD dst_unused:UNUSED_PAD src0_sel:WORD_1 src1_sel:DWORD
	v_mul_f16_sdwa v7, v23, v22 dst_sel:DWORD dst_unused:UNUSED_PAD src0_sel:WORD_1 src1_sel:DWORD
	v_fma_f16 v6, v23, v22, v6
	v_fma_f16 v1, v23, v1, -v7
	v_pack_b32_f16 v1, v6, v1
	s_waitcnt vmcnt(7)
	v_lshrrev_b32_e32 v6, 16, v24
	s_waitcnt vmcnt(6)
	v_mul_f16_sdwa v7, v25, v6 dst_sel:DWORD dst_unused:UNUSED_PAD src0_sel:WORD_1 src1_sel:DWORD
	v_mul_f16_sdwa v8, v25, v24 dst_sel:DWORD dst_unused:UNUSED_PAD src0_sel:WORD_1 src1_sel:DWORD
	v_fma_f16 v7, v25, v24, v7
	v_fma_f16 v6, v25, v6, -v8
	v_pack_b32_f16 v6, v7, v6
	ds_write2_b32 v4, v1, v6 offset0:127 offset1:202
	s_waitcnt vmcnt(5)
	v_lshrrev_b32_e32 v1, 16, v26
	s_waitcnt vmcnt(4)
	v_mul_f16_sdwa v6, v27, v1 dst_sel:DWORD dst_unused:UNUSED_PAD src0_sel:WORD_1 src1_sel:DWORD
	v_mul_f16_sdwa v7, v27, v26 dst_sel:DWORD dst_unused:UNUSED_PAD src0_sel:WORD_1 src1_sel:DWORD
	v_fma_f16 v6, v27, v26, v6
	v_fma_f16 v1, v27, v1, -v7
	v_pack_b32_f16 v1, v6, v1
	s_waitcnt vmcnt(3)
	v_lshrrev_b32_e32 v6, 16, v28
	s_waitcnt vmcnt(2)
	v_mul_f16_sdwa v7, v29, v6 dst_sel:DWORD dst_unused:UNUSED_PAD src0_sel:WORD_1 src1_sel:DWORD
	v_mul_f16_sdwa v8, v29, v28 dst_sel:DWORD dst_unused:UNUSED_PAD src0_sel:WORD_1 src1_sel:DWORD
	v_fma_f16 v7, v29, v28, v7
	v_fma_f16 v6, v29, v6, -v8
	v_pack_b32_f16 v6, v7, v6
	v_add_u32_e32 v7, 0xc00, v45
	ds_write2_b32 v7, v1, v6 offset0:21 offset1:96
	s_waitcnt vmcnt(1)
	v_lshrrev_b32_e32 v1, 16, v0
	s_waitcnt vmcnt(0)
	v_mul_f16_sdwa v6, v31, v1 dst_sel:DWORD dst_unused:UNUSED_PAD src0_sel:WORD_1 src1_sel:DWORD
	v_fma_f16 v6, v31, v0, v6
	v_mul_f16_sdwa v0, v31, v0 dst_sel:DWORD dst_unused:UNUSED_PAD src0_sel:WORD_1 src1_sel:DWORD
	v_fma_f16 v0, v31, v1, -v0
	v_pack_b32_f16 v0, v6, v0
	ds_write_b32 v45, v0 offset:3756
.LBB0_3:
	s_or_b64 exec, exec, s[14:15]
	s_waitcnt lgkmcnt(0)
	s_barrier
	ds_read2_b32 v[22:23], v45 offset1:75
	ds_read2_b32 v[18:19], v45 offset0:150 offset1:225
	ds_read2_b32 v[14:15], v2 offset0:44 offset1:119
	;; [unrolled: 1-line block ×5, first 2 shown]
	ds_read_b32 v24, v45 offset:3600
	s_load_dwordx2 s[8:9], s[0:1], 0x8
	v_mov_b32_e32 v0, 0
                                        ; implicit-def: $vgpr3
                                        ; implicit-def: $vgpr29
                                        ; implicit-def: $vgpr4
                                        ; implicit-def: $vgpr33
                                        ; implicit-def: $vgpr34
                                        ; implicit-def: $vgpr8
                                        ; implicit-def: $vgpr35
                                        ; implicit-def: $vgpr36
                                        ; implicit-def: $vgpr38
                                        ; implicit-def: $vgpr37
                                        ; implicit-def: $vgpr26
                                        ; implicit-def: $vgpr7
                                        ; implicit-def: $vgpr27
                                        ; implicit-def: $vgpr30
                                        ; implicit-def: $vgpr11
                                        ; implicit-def: $vgpr31
                                        ; implicit-def: $vgpr32
                                        ; implicit-def: $vgpr28
	s_and_saveexec_b64 s[0:1], vcc
	s_cbranch_execz .LBB0_5
; %bb.4:
	v_add_u32_e32 v2, 0x200, v45
	ds_read2_b32 v[0:1], v45 offset0:39 offset1:114
	v_add_u32_e32 v3, 0x400, v45
	ds_read2_b32 v[10:11], v2 offset0:61 offset1:136
	ds_read2_b32 v[6:7], v3 offset0:83 offset1:158
	v_add_u32_e32 v2, 0x600, v45
	v_add_u32_e32 v4, 0x800, v45
	;; [unrolled: 1-line block ×3, first 2 shown]
	ds_read2_b32 v[2:3], v2 offset0:105 offset1:180
	ds_read2_b32 v[4:5], v4 offset0:127 offset1:202
	;; [unrolled: 1-line block ×3, first 2 shown]
	ds_read_b32 v38, v45 offset:3756
	s_waitcnt lgkmcnt(0)
	v_lshrrev_b32_e32 v28, 16, v1
	v_lshrrev_b32_e32 v32, 16, v10
	;; [unrolled: 1-line block ×12, first 2 shown]
.LBB0_5:
	s_or_b64 exec, exec, s[0:1]
	s_waitcnt lgkmcnt(0)
	v_add_f16_sdwa v39, v22, v23 dst_sel:DWORD dst_unused:UNUSED_PAD src0_sel:WORD_1 src1_sel:WORD_1
	v_add_f16_e32 v25, v22, v23
	v_add_f16_sdwa v39, v39, v18 dst_sel:DWORD dst_unused:UNUSED_PAD src0_sel:DWORD src1_sel:WORD_1
	v_add_f16_e32 v25, v25, v18
	v_add_f16_sdwa v39, v39, v19 dst_sel:DWORD dst_unused:UNUSED_PAD src0_sel:DWORD src1_sel:WORD_1
	;; [unrolled: 2-line block ×11, first 2 shown]
	v_add_f16_e32 v39, v24, v23
	v_add_f16_sdwa v48, v24, v23 dst_sel:DWORD dst_unused:UNUSED_PAD src0_sel:WORD_1 src1_sel:WORD_1
	v_sub_f16_e32 v49, v23, v24
	v_sub_f16_sdwa v23, v23, v24 dst_sel:DWORD dst_unused:UNUSED_PAD src0_sel:WORD_1 src1_sel:WORD_1
	v_add_f16_e32 v25, v25, v24
	v_mul_f16_e32 v24, 0xb770, v23
	s_movk_i32 s2, 0x3b15
	v_mul_f16_e32 v51, 0xb770, v49
	v_mul_f16_e32 v53, 0xba95, v23
	s_movk_i32 s3, 0x388b
	v_mul_f16_e32 v55, 0xba95, v49
	;; [unrolled: 3-line block ×3, first 2 shown]
	v_mul_f16_e32 v61, 0xbb7b, v23
	s_mov_b32 s15, 0xb5ac
	v_mul_f16_e32 v63, 0xbb7b, v49
	v_mul_f16_e32 v65, 0xb94e, v23
	s_mov_b32 s16, 0xb9fd
	v_mul_f16_e32 v67, 0xb94e, v49
	;; [unrolled: 3-line block ×3, first 2 shown]
	v_fma_f16 v50, v39, s2, -v24
	v_fma_f16 v52, v48, s2, v51
	v_fma_f16 v24, v39, s2, v24
	v_fma_f16 v51, v48, s2, -v51
	v_fma_f16 v54, v39, s3, -v53
	v_fma_f16 v56, v48, s3, v55
	v_fma_f16 v53, v39, s3, v53
	v_fma_f16 v55, v48, s3, -v55
	;; [unrolled: 4-line block ×6, first 2 shown]
	v_sub_f16_sdwa v48, v18, v21 dst_sel:DWORD dst_unused:UNUSED_PAD src0_sel:WORD_1 src1_sel:WORD_1
	v_add_f16_e32 v50, v22, v50
	v_add_f16_sdwa v52, v22, v52 dst_sel:DWORD dst_unused:UNUSED_PAD src0_sel:WORD_1 src1_sel:DWORD
	v_add_f16_e32 v24, v22, v24
	v_add_f16_sdwa v51, v22, v51 dst_sel:DWORD dst_unused:UNUSED_PAD src0_sel:WORD_1 src1_sel:DWORD
	;; [unrolled: 2-line block ×12, first 2 shown]
	v_add_f16_e32 v39, v21, v18
	v_mul_f16_e32 v49, 0xba95, v48
	v_fma_f16 v71, v39, s3, -v49
	v_add_f16_e32 v50, v71, v50
	v_add_f16_sdwa v71, v21, v18 dst_sel:DWORD dst_unused:UNUSED_PAD src0_sel:WORD_1 src1_sel:WORD_1
	v_sub_f16_e32 v18, v18, v21
	v_mul_f16_e32 v21, 0xba95, v18
	v_fma_f16 v49, v39, s3, v49
	v_fma_f16 v72, v71, s3, v21
	v_add_f16_e32 v24, v49, v24
	v_fma_f16 v21, v71, s3, -v21
	v_mul_f16_e32 v49, 0xbb7b, v48
	v_add_f16_e32 v21, v21, v51
	v_fma_f16 v51, v39, s15, -v49
	v_add_f16_e32 v51, v51, v54
	v_mul_f16_e32 v54, 0xbb7b, v18
	v_fma_f16 v49, v39, s15, v49
	v_add_f16_e32 v52, v72, v52
	v_fma_f16 v72, v71, s15, v54
	v_add_f16_e32 v49, v49, v53
	v_fma_f16 v53, v71, s15, -v54
	v_mul_f16_e32 v54, 0xb3a8, v48
	v_add_f16_e32 v53, v53, v55
	v_fma_f16 v55, v39, s17, -v54
	v_add_f16_e32 v55, v55, v58
	v_mul_f16_e32 v58, 0xb3a8, v18
	v_fma_f16 v54, v39, s17, v54
	v_add_f16_e32 v56, v72, v56
	v_fma_f16 v72, v71, s17, v58
	v_add_f16_e32 v54, v54, v57
	v_fma_f16 v57, v71, s17, -v58
	v_mul_f16_e32 v58, 0x394e, v48
	v_add_f16_e32 v57, v57, v59
	v_fma_f16 v59, v39, s16, -v58
	v_add_f16_e32 v59, v59, v62
	v_mul_f16_e32 v62, 0x394e, v18
	v_fma_f16 v58, v39, s16, v58
	v_add_f16_e32 v60, v72, v60
	v_fma_f16 v72, v71, s16, v62
	v_add_f16_e32 v58, v58, v61
	v_fma_f16 v61, v71, s16, -v62
	v_mul_f16_e32 v62, 0x3bf1, v48
	v_add_f16_e32 v61, v61, v63
	v_fma_f16 v63, v39, s14, -v62
	v_add_f16_e32 v63, v63, v66
	v_mul_f16_e32 v66, 0x3bf1, v18
	v_fma_f16 v62, v39, s14, v62
	v_add_f16_e32 v62, v62, v65
	v_fma_f16 v65, v71, s14, -v66
	v_mul_f16_e32 v48, 0x3770, v48
	v_mul_f16_e32 v18, 0x3770, v18
	v_add_f16_e32 v64, v72, v64
	v_fma_f16 v72, v71, s14, v66
	v_add_f16_e32 v65, v65, v67
	v_fma_f16 v66, v39, s2, -v48
	v_fma_f16 v67, v71, s2, v18
	v_fma_f16 v39, v39, s2, v48
	v_fma_f16 v18, v71, s2, -v18
	v_add_f16_e32 v23, v39, v23
	v_add_f16_e32 v18, v18, v22
	;; [unrolled: 1-line block ×3, first 2 shown]
	v_add_f16_sdwa v39, v20, v19 dst_sel:DWORD dst_unused:UNUSED_PAD src0_sel:WORD_1 src1_sel:WORD_1
	v_sub_f16_e32 v48, v19, v20
	v_sub_f16_sdwa v19, v19, v20 dst_sel:DWORD dst_unused:UNUSED_PAD src0_sel:WORD_1 src1_sel:WORD_1
	v_mul_f16_e32 v20, 0xbbf1, v19
	v_add_f16_e32 v66, v66, v69
	v_fma_f16 v69, v22, s14, -v20
	v_add_f16_e32 v50, v69, v50
	v_mul_f16_e32 v69, 0xbbf1, v48
	v_fma_f16 v20, v22, s14, v20
	v_add_f16_e32 v20, v20, v24
	v_fma_f16 v24, v39, s14, -v69
	v_add_f16_e32 v21, v24, v21
	v_mul_f16_e32 v24, 0xb3a8, v19
	v_add_f16_e32 v67, v67, v70
	v_fma_f16 v70, v39, s14, v69
	v_fma_f16 v69, v22, s17, -v24
	v_add_f16_e32 v51, v69, v51
	v_mul_f16_e32 v69, 0xb3a8, v48
	v_fma_f16 v24, v22, s17, v24
	v_add_f16_e32 v24, v24, v49
	v_fma_f16 v49, v39, s17, -v69
	v_add_f16_e32 v49, v49, v53
	v_mul_f16_e32 v53, 0x3b7b, v19
	v_add_f16_e32 v52, v70, v52
	v_fma_f16 v70, v39, s17, v69
	;; [unrolled: 10-line block ×4, first 2 shown]
	v_fma_f16 v69, v22, s3, -v61
	v_add_f16_e32 v63, v69, v63
	v_mul_f16_e32 v69, 0xba95, v48
	v_fma_f16 v61, v22, s3, v61
	v_add_f16_e32 v61, v61, v62
	v_fma_f16 v62, v39, s3, -v69
	v_mul_f16_e32 v19, 0xb94e, v19
	v_mul_f16_e32 v48, 0xb94e, v48
	v_add_f16_e32 v62, v62, v65
	v_fma_f16 v65, v22, s16, -v19
	v_fma_f16 v19, v22, s16, v19
	v_fma_f16 v22, v39, s16, -v48
	v_add_f16_e32 v64, v70, v64
	v_fma_f16 v70, v39, s3, v69
	v_add_f16_e32 v65, v65, v66
	v_fma_f16 v66, v39, s16, v48
	v_add_f16_e32 v19, v19, v23
	v_add_f16_e32 v18, v22, v18
	;; [unrolled: 1-line block ×3, first 2 shown]
	v_add_f16_sdwa v23, v17, v14 dst_sel:DWORD dst_unused:UNUSED_PAD src0_sel:WORD_1 src1_sel:WORD_1
	v_sub_f16_e32 v39, v14, v17
	v_sub_f16_sdwa v14, v14, v17 dst_sel:DWORD dst_unused:UNUSED_PAD src0_sel:WORD_1 src1_sel:WORD_1
	v_mul_f16_e32 v17, 0xbb7b, v14
	v_fma_f16 v48, v22, s15, -v17
	v_add_f16_e32 v48, v48, v50
	v_mul_f16_e32 v50, 0xbb7b, v39
	v_fma_f16 v17, v22, s15, v17
	v_add_f16_e32 v17, v17, v20
	v_fma_f16 v20, v23, s15, -v50
	v_add_f16_e32 v20, v20, v21
	v_mul_f16_e32 v21, 0x394e, v14
	v_add_f16_e32 v66, v66, v67
	v_fma_f16 v67, v23, s15, v50
	v_fma_f16 v50, v22, s16, -v21
	v_add_f16_e32 v50, v50, v51
	v_mul_f16_e32 v51, 0x394e, v39
	v_fma_f16 v21, v22, s16, v21
	v_add_f16_e32 v21, v21, v24
	v_fma_f16 v24, v23, s16, -v51
	v_add_f16_e32 v24, v24, v49
	v_mul_f16_e32 v49, 0x3770, v14
	v_add_f16_e32 v52, v67, v52
	v_fma_f16 v67, v23, s16, v51
	;; [unrolled: 10-line block ×4, first 2 shown]
	v_fma_f16 v59, v22, s17, -v58
	v_add_f16_e32 v59, v59, v63
	v_mul_f16_e32 v63, 0x33a8, v39
	v_fma_f16 v58, v22, s17, v58
	v_add_f16_e32 v58, v58, v61
	v_fma_f16 v61, v23, s17, -v63
	v_mul_f16_e32 v14, 0x3a95, v14
	v_add_f16_e32 v61, v61, v62
	v_fma_f16 v62, v22, s3, -v14
	v_mul_f16_e32 v39, 0x3a95, v39
	v_fma_f16 v14, v22, s3, v14
	v_add_f16_e32 v14, v14, v19
	v_fma_f16 v19, v23, s3, -v39
	v_add_f16_e32 v64, v67, v64
	v_fma_f16 v67, v23, s17, v63
	v_fma_f16 v63, v23, s3, v39
	v_add_f16_e32 v18, v19, v18
	v_add_f16_e32 v19, v16, v15
	v_add_f16_sdwa v22, v16, v15 dst_sel:DWORD dst_unused:UNUSED_PAD src0_sel:WORD_1 src1_sel:WORD_1
	v_sub_f16_e32 v23, v15, v16
	v_sub_f16_sdwa v15, v15, v16 dst_sel:DWORD dst_unused:UNUSED_PAD src0_sel:WORD_1 src1_sel:WORD_1
	v_mul_f16_e32 v16, 0xb94e, v15
	v_fma_f16 v39, v19, s16, -v16
	v_add_f16_e32 v39, v39, v48
	v_mul_f16_e32 v48, 0xb94e, v23
	v_fma_f16 v16, v19, s16, v16
	v_add_f16_e32 v16, v16, v17
	v_fma_f16 v17, v22, s16, -v48
	v_add_f16_e32 v17, v17, v20
	v_mul_f16_e32 v20, 0x3bf1, v15
	v_add_f16_e32 v62, v62, v65
	v_fma_f16 v65, v22, s16, v48
	v_fma_f16 v48, v19, s14, -v20
	v_add_f16_e32 v48, v48, v50
	v_mul_f16_e32 v50, 0x3bf1, v23
	v_fma_f16 v20, v19, s14, v20
	v_add_f16_e32 v20, v20, v21
	v_fma_f16 v21, v22, s14, -v50
	v_add_f16_e32 v21, v21, v24
	v_mul_f16_e32 v24, 0xba95, v15
	v_add_f16_e32 v52, v65, v52
	v_fma_f16 v65, v22, s14, v50
	v_fma_f16 v50, v19, s3, -v24
	v_add_f16_e32 v50, v50, v51
	v_mul_f16_e32 v51, 0xba95, v23
	v_fma_f16 v24, v19, s3, v24
	v_add_f16_e32 v56, v65, v56
	v_fma_f16 v65, v22, s3, v51
	v_add_f16_e32 v24, v24, v49
	v_fma_f16 v49, v22, s3, -v51
	v_mul_f16_e32 v51, 0x33a8, v15
	v_add_f16_e32 v49, v49, v53
	v_fma_f16 v53, v19, s17, -v51
	v_add_f16_e32 v53, v53, v55
	v_mul_f16_e32 v55, 0x33a8, v23
	v_fma_f16 v51, v19, s17, v51
	v_add_f16_e32 v60, v65, v60
	v_fma_f16 v65, v22, s17, v55
	v_add_f16_e32 v51, v51, v54
	v_fma_f16 v54, v22, s17, -v55
	v_mul_f16_e32 v55, 0x3770, v15
	v_add_f16_e32 v54, v54, v57
	v_fma_f16 v57, v19, s2, -v55
	v_add_f16_e32 v57, v57, v59
	v_mul_f16_e32 v59, 0x3770, v23
	v_fma_f16 v55, v19, s2, v55
	v_mul_f16_e32 v15, 0xbb7b, v15
	v_add_f16_e32 v64, v65, v64
	v_fma_f16 v65, v22, s2, v59
	v_add_f16_e32 v55, v55, v58
	v_fma_f16 v58, v22, s2, -v59
	v_fma_f16 v59, v19, s15, -v15
	v_mul_f16_e32 v23, 0xbb7b, v23
	v_fma_f16 v15, v19, s15, v15
	v_add_f16_e32 v14, v15, v14
	v_fma_f16 v15, v22, s15, -v23
	v_add_f16_e32 v58, v58, v61
	v_fma_f16 v61, v22, s15, v23
	v_add_f16_e32 v15, v15, v18
	v_add_f16_e32 v18, v13, v12
	v_add_f16_sdwa v19, v13, v12 dst_sel:DWORD dst_unused:UNUSED_PAD src0_sel:WORD_1 src1_sel:WORD_1
	v_sub_f16_e32 v22, v12, v13
	v_sub_f16_sdwa v12, v12, v13 dst_sel:DWORD dst_unused:UNUSED_PAD src0_sel:WORD_1 src1_sel:WORD_1
	v_mul_f16_e32 v13, 0xb3a8, v12
	v_fma_f16 v23, v18, s17, -v13
	v_add_f16_e32 v23, v23, v39
	v_mul_f16_e32 v39, 0xb3a8, v22
	v_fma_f16 v13, v18, s17, v13
	v_add_f16_e32 v71, v13, v16
	v_fma_f16 v13, v19, s17, -v39
	v_add_f16_e32 v68, v72, v68
	v_add_f16_e32 v72, v13, v17
	v_mul_f16_e32 v13, 0x3770, v12
	v_fma_f16 v16, v18, s2, -v13
	v_add_f16_e32 v68, v70, v68
	v_add_f16_e32 v17, v16, v48
	v_mul_f16_e32 v16, 0x3770, v22
	v_fma_f16 v13, v18, s2, v13
	v_add_f16_e32 v67, v67, v68
	v_add_f16_e32 v68, v13, v20
	v_fma_f16 v13, v19, s2, -v16
	v_add_f16_e32 v70, v13, v21
	v_mul_f16_e32 v13, 0xb94e, v12
	v_add_f16_e32 v59, v59, v62
	v_fma_f16 v62, v19, s17, v39
	v_fma_f16 v39, v19, s2, v16
	v_fma_f16 v16, v18, s16, -v13
	v_add_f16_e32 v20, v16, v50
	v_mul_f16_e32 v16, 0xb94e, v22
	v_fma_f16 v13, v18, s16, v13
	v_fma_f16 v21, v19, s16, v16
	v_add_f16_e32 v24, v13, v24
	v_fma_f16 v13, v19, s16, -v16
	v_add_f16_e32 v21, v21, v60
	v_add_f16_e32 v60, v13, v49
	v_mul_f16_e32 v13, 0x3a95, v12
	v_add_f16_e32 v63, v63, v66
	v_fma_f16 v16, v18, s3, -v13
	v_add_f16_e32 v61, v61, v63
	v_add_f16_e32 v63, v16, v53
	v_mul_f16_e32 v16, 0x3a95, v22
	v_fma_f16 v13, v18, s3, v13
	v_add_f16_e32 v73, v13, v51
	v_fma_f16 v13, v19, s3, -v16
	v_add_f16_e32 v74, v13, v54
	v_mul_f16_e32 v13, 0xbb7b, v12
	v_add_f16_e32 v56, v39, v56
	v_fma_f16 v39, v19, s3, v16
	v_fma_f16 v16, v18, s15, -v13
	v_add_f16_e32 v65, v65, v67
	v_add_f16_e32 v67, v16, v57
	v_mul_f16_e32 v16, 0xbb7b, v22
	v_fma_f16 v13, v18, s15, v13
	v_add_f16_e32 v75, v13, v55
	v_fma_f16 v13, v19, s15, -v16
	v_mul_f16_e32 v12, 0x3bf1, v12
	v_add_f16_e32 v58, v13, v58
	v_fma_f16 v13, v18, s14, -v12
	v_add_f16_e32 v69, v13, v59
	v_mul_f16_e32 v13, 0x3bf1, v22
	v_fma_f16 v12, v18, s14, v12
	v_add_f16_e32 v66, v39, v64
	v_fma_f16 v39, v19, s15, v16
	v_add_f16_e32 v76, v12, v14
	v_fma_f16 v12, v19, s14, -v13
	v_sub_f16_e32 v51, v28, v37
	v_add_f16_e32 v65, v39, v65
	v_fma_f16 v16, v19, s14, v13
	v_add_f16_e32 v19, v12, v15
	v_add_f16_e32 v12, v38, v1
	v_sub_f16_e32 v53, v1, v38
	v_mul_f16_e32 v39, 0xb770, v51
	v_add_f16_e32 v14, v37, v28
	v_mul_f16_e32 v49, 0xb770, v53
	v_fma_f16 v13, v12, s2, v39
	v_add_f16_e32 v62, v62, v52
	v_add_f16_e32 v22, v16, v61
	;; [unrolled: 1-line block ×3, first 2 shown]
	v_fma_f16 v13, v14, s2, -v49
	v_sub_f16_e32 v52, v32, v36
	v_add_f16_sdwa v18, v13, v0 dst_sel:DWORD dst_unused:UNUSED_PAD src0_sel:DWORD src1_sel:WORD_1
	v_add_f16_e32 v13, v9, v10
	v_mul_f16_e32 v48, 0xba95, v52
	v_sub_f16_e32 v54, v10, v9
	v_fma_f16 v50, v13, s3, v48
	v_add_f16_e32 v15, v36, v32
	v_add_f16_e32 v59, v50, v16
	v_mul_f16_e32 v50, 0xba95, v54
	v_fma_f16 v16, v15, s3, -v50
	v_add_f16_e32 v77, v16, v18
	v_pack_b32_f16 v18, v23, v62
	v_pack_b32_f16 v23, v25, v47
	v_mul_lo_u16_e32 v25, 13, v42
	v_sub_f16_e32 v61, v31, v35
	v_add_f16_e32 v16, v8, v11
	v_lshl_add_u32 v103, v25, 2, v101
	v_sub_f16_e32 v64, v11, v8
	v_pack_b32_f16 v20, v20, v21
	v_pack_b32_f16 v17, v17, v56
	v_mul_f16_e32 v55, 0xbbf1, v61
	s_barrier
	ds_write2_b32 v103, v23, v18 offset1:1
	v_add_f16_e32 v18, v35, v31
	ds_write2_b32 v103, v17, v20 offset0:2 offset1:3
	v_mul_f16_e32 v57, 0xbbf1, v64
	v_fma_f16 v17, v16, s14, v55
	v_add_f16_e32 v21, v17, v59
	v_fma_f16 v17, v18, s14, -v57
	v_pack_b32_f16 v47, v63, v66
	v_sub_f16_e32 v63, v30, v34
	v_add_f16_e32 v23, v17, v77
	v_add_f16_e32 v17, v5, v6
	v_pack_b32_f16 v25, v67, v65
	v_mul_f16_e32 v56, 0xbb7b, v63
	v_sub_f16_e32 v67, v6, v5
	v_add_f16_e32 v20, v34, v30
	ds_write2_b32 v103, v47, v25 offset0:4 offset1:5
	v_fma_f16 v25, v17, s15, v56
	v_mul_f16_e32 v59, 0xbb7b, v67
	v_add_f16_e32 v21, v25, v21
	v_fma_f16 v25, v20, s15, -v59
	v_add_f16_e32 v23, v25, v23
	v_pack_b32_f16 v25, v76, v19
	v_pack_b32_f16 v22, v69, v22
	v_sub_f16_e32 v66, v27, v33
	v_add_f16_e32 v19, v4, v7
	ds_write2_b32 v103, v22, v25 offset0:6 offset1:7
	v_sub_f16_e32 v69, v7, v4
	v_pack_b32_f16 v25, v73, v74
	v_pack_b32_f16 v47, v75, v58
	v_mul_f16_e32 v58, 0xb94e, v66
	v_add_f16_e32 v22, v33, v27
	ds_write2_b32 v103, v47, v25 offset0:8 offset1:9
	v_mul_f16_e32 v62, 0xb94e, v69
	v_fma_f16 v25, v19, s16, v58
	v_add_f16_e32 v25, v25, v21
	v_fma_f16 v21, v22, s16, -v62
	v_pack_b32_f16 v47, v68, v70
	v_sub_f16_e32 v68, v26, v29
	v_add_f16_e32 v73, v21, v23
	v_add_f16_e32 v21, v3, v2
	v_pack_b32_f16 v24, v24, v60
	v_mul_f16_e32 v60, 0xb3a8, v68
	v_sub_f16_e32 v70, v2, v3
	v_add_f16_e32 v23, v29, v26
	ds_write2_b32 v103, v24, v47 offset0:10 offset1:11
	v_fma_f16 v24, v21, s17, v60
	v_mul_f16_e32 v65, 0xb3a8, v70
	v_add_f16_e32 v47, v24, v25
	v_fma_f16 v24, v23, s17, -v65
	v_add_f16_e32 v83, v24, v73
	v_pack_b32_f16 v24, v71, v72
	ds_write_b32 v103, v24 offset:48
	v_lshl_add_u64 v[24:25], v[42:43], 0, 39
	v_mul_u32_u24_e32 v102, 13, v24
	s_and_saveexec_b64 s[0:1], vcc
	s_cbranch_execz .LBB0_7
; %bb.6:
	v_mul_f16_e32 v71, 0xb3a8, v53
	v_fma_f16 v72, v14, s17, v71
	v_mul_f16_e32 v73, 0x3770, v54
	v_add_f16_sdwa v72, v72, v0 dst_sel:DWORD dst_unused:UNUSED_PAD src0_sel:DWORD src1_sel:WORD_1
	v_fma_f16 v74, v15, s2, v73
	v_add_f16_e32 v72, v74, v72
	v_mul_f16_e32 v74, 0xb94e, v64
	v_fma_f16 v75, v18, s16, v74
	v_add_f16_e32 v72, v75, v72
	v_mul_f16_e32 v75, 0x3a95, v67
	;; [unrolled: 3-line block ×5, first 2 shown]
	v_fma_f16 v79, v12, s17, -v78
	v_mul_f16_e32 v80, 0x3770, v52
	v_add_f16_e32 v79, v79, v0
	v_fma_f16 v81, v13, s2, -v80
	v_add_f16_e32 v79, v81, v79
	v_mul_f16_e32 v81, 0xb94e, v61
	v_fma_f16 v84, v16, s16, -v81
	v_add_f16_e32 v79, v84, v79
	v_mul_f16_e32 v84, 0x3a95, v63
	;; [unrolled: 3-line block ×5, first 2 shown]
	v_fma_f16 v104, v14, s16, v87
	v_mul_f16_e32 v105, 0x3bf1, v54
	v_add_f16_sdwa v104, v104, v0 dst_sel:DWORD dst_unused:UNUSED_PAD src0_sel:DWORD src1_sel:WORD_1
	v_fma_f16 v106, v15, s14, v105
	v_add_f16_e32 v104, v106, v104
	v_mul_f16_e32 v106, 0xba95, v64
	v_fma_f16 v107, v18, s3, v106
	v_add_f16_e32 v104, v107, v104
	v_mul_f16_e32 v107, 0x33a8, v67
	v_fma_f16 v108, v20, s17, v107
	v_add_f16_e32 v104, v108, v104
	v_mul_f16_e32 v108, 0x3770, v69
	v_fma_f16 v109, v22, s2, v108
	v_add_f16_e32 v104, v109, v104
	v_mul_f16_e32 v109, 0xbb7b, v70
	v_fma_f16 v110, v23, s15, v109
	v_add_f16_e32 v104, v110, v104
	v_mul_f16_e32 v110, 0xb94e, v51
	v_fma_f16 v111, v12, s16, -v110
	v_mul_f16_e32 v112, 0x3bf1, v52
	v_add_f16_e32 v111, v111, v0
	v_fma_f16 v113, v13, s14, -v112
	v_add_f16_e32 v1, v1, v0
	v_add_f16_e32 v111, v113, v111
	v_mul_f16_e32 v113, 0xba95, v61
	v_add_f16_e32 v1, v10, v1
	v_fma_f16 v114, v16, s3, -v113
	v_add_f16_e32 v1, v11, v1
	v_add_f16_e32 v111, v114, v111
	v_mul_f16_e32 v114, 0x33a8, v63
	v_add_f16_e32 v1, v6, v1
	v_fma_f16 v115, v17, s17, -v114
	v_mul_f16_e32 v10, 0x3770, v66
	v_add_f16_e32 v1, v7, v1
	v_mul_f16_e32 v6, 0xbb7b, v53
	v_add_f16_e32 v111, v115, v111
	v_fma_f16 v11, v19, s2, -v10
	v_fma_f16 v7, v14, s15, v6
	v_add_f16_e32 v1, v2, v1
	v_mul_f16_e32 v2, 0x394e, v54
	v_add_f16_e32 v11, v11, v111
	v_mul_f16_e32 v111, 0xbb7b, v68
	v_add_f16_sdwa v7, v7, v0 dst_sel:DWORD dst_unused:UNUSED_PAD src0_sel:DWORD src1_sel:WORD_1
	v_add_f16_e32 v1, v3, v1
	v_fma_f16 v3, v15, s16, v2
	v_fma_f16 v115, v21, s15, -v111
	v_add_f16_e32 v3, v3, v7
	v_mul_f16_e32 v7, 0x3770, v64
	v_add_f16_e32 v11, v115, v11
	v_fma_f16 v115, v18, s2, v7
	v_add_f16_e32 v1, v4, v1
	v_mul_f16_e32 v4, 0xbbf1, v67
	v_add_f16_e32 v3, v115, v3
	v_add_f16_e32 v1, v5, v1
	v_fma_f16 v5, v20, s14, v4
	v_add_f16_e32 v3, v5, v3
	v_mul_f16_e32 v5, 0x33a8, v69
	v_fma_f16 v115, v22, s17, v5
	v_add_f16_e32 v1, v8, v1
	v_mul_f16_e32 v8, 0x3a95, v70
	v_add_f16_e32 v3, v115, v3
	v_add_f16_e32 v1, v9, v1
	v_fma_f16 v9, v23, s3, v8
	v_add_f16_e32 v3, v9, v3
	v_mul_f16_e32 v9, 0xbb7b, v51
	v_fma_f16 v115, v12, s15, -v9
	v_mul_f16_e32 v116, 0x394e, v52
	v_add_f16_e32 v115, v115, v0
	v_fma_f16 v117, v13, s16, -v116
	v_add_f16_e32 v115, v117, v115
	v_mul_f16_e32 v117, 0x3770, v61
	v_fma_f16 v118, v16, s2, -v117
	v_add_f16_e32 v115, v118, v115
	v_mul_f16_e32 v118, 0xbbf1, v63
	;; [unrolled: 3-line block ×5, first 2 shown]
	v_fma_f16 v122, v14, s14, v121
	v_mul_f16_e32 v123, 0xb3a8, v54
	v_add_f16_sdwa v122, v122, v0 dst_sel:DWORD dst_unused:UNUSED_PAD src0_sel:DWORD src1_sel:WORD_1
	v_fma_f16 v124, v15, s17, v123
	v_add_f16_e32 v122, v124, v122
	v_mul_f16_e32 v124, 0x3b7b, v64
	v_fma_f16 v125, v18, s15, v124
	v_add_f16_e32 v122, v125, v122
	v_mul_f16_e32 v125, 0x3770, v67
	;; [unrolled: 3-line block ×5, first 2 shown]
	v_fma_f16 v129, v12, s14, -v128
	v_mul_f16_e32 v130, 0xb3a8, v52
	v_add_f16_e32 v129, v129, v0
	v_fma_f16 v131, v13, s17, -v130
	v_add_f16_e32 v129, v131, v129
	v_mul_f16_e32 v131, 0x3b7b, v61
	v_fma_f16 v132, v16, s15, -v131
	v_add_f16_e32 v129, v132, v129
	v_mul_f16_e32 v132, 0x3770, v63
	;; [unrolled: 3-line block ×4, first 2 shown]
	v_fma_f16 v135, v21, s16, -v134
	v_mul_f16_e32 v53, 0xba95, v53
	v_fma_f16 v6, v14, s15, -v6
	v_add_f16_e32 v129, v135, v129
	v_fma_f16 v135, v14, s3, v53
	v_mul_f16_e32 v54, 0xbb7b, v54
	v_add_f16_sdwa v6, v6, v0 dst_sel:DWORD dst_unused:UNUSED_PAD src0_sel:DWORD src1_sel:WORD_1
	v_fma_f16 v2, v15, s16, -v2
	v_add_f16_sdwa v135, v135, v0 dst_sel:DWORD dst_unused:UNUSED_PAD src0_sel:DWORD src1_sel:WORD_1
	v_fma_f16 v136, v15, s15, v54
	v_mul_f16_e32 v64, 0xb3a8, v64
	v_add_f16_e32 v2, v2, v6
	v_fma_f16 v6, v18, s2, -v7
	v_add_f16_e32 v135, v136, v135
	v_fma_f16 v136, v18, s17, v64
	v_mul_f16_e32 v67, 0x394e, v67
	v_add_f16_e32 v2, v6, v2
	v_fma_f16 v4, v20, s14, -v4
	v_add_f16_e32 v135, v136, v135
	;; [unrolled: 5-line block ×4, first 2 shown]
	v_fma_f16 v136, v23, s2, v70
	v_mul_f16_e32 v51, 0xba95, v51
	v_add_f16_e32 v2, v4, v2
	v_fma_f16 v4, v12, s15, v9
	v_add_f16_e32 v135, v136, v135
	v_fma_f16 v136, v12, s3, -v51
	v_mul_f16_e32 v52, 0xbb7b, v52
	v_add_f16_sdwa v28, v28, v0 dst_sel:DWORD dst_unused:UNUSED_PAD src0_sel:DWORD src1_sel:WORD_1
	v_add_f16_e32 v4, v4, v0
	v_fma_f16 v5, v13, s16, v116
	v_add_f16_e32 v136, v136, v0
	v_fma_f16 v137, v13, s15, -v52
	v_mul_f16_e32 v61, 0xb3a8, v61
	v_add_f16_e32 v28, v32, v28
	v_add_f16_e32 v4, v5, v4
	v_fma_f16 v5, v16, s2, v117
	v_add_f16_e32 v136, v137, v136
	v_fma_f16 v137, v16, s17, -v61
	v_mul_f16_e32 v63, 0x394e, v63
	v_add_f16_e32 v28, v31, v28
	;; [unrolled: 6-line block ×4, first 2 shown]
	v_add_f16_e32 v4, v5, v4
	v_fma_f16 v5, v21, s3, v120
	v_add_f16_e32 v136, v137, v136
	v_fma_f16 v137, v21, s2, -v68
	v_add_f16_e32 v26, v26, v27
	v_fma_f16 v27, v14, s17, -v71
	;; [unrolled: 2-line block ×3, first 2 shown]
	v_add_f16_e32 v136, v137, v136
	v_mul_f16_e32 v137, 0x3b15, v14
	v_add_f16_sdwa v27, v27, v0 dst_sel:DWORD dst_unused:UNUSED_PAD src0_sel:DWORD src1_sel:WORD_1
	v_fma_f16 v28, v15, s2, -v73
	v_add_f16_sdwa v5, v5, v0 dst_sel:DWORD dst_unused:UNUSED_PAD src0_sel:DWORD src1_sel:WORD_1
	v_fma_f16 v6, v15, s17, -v123
	v_add_f16_e32 v49, v49, v137
	v_mul_f16_e32 v137, 0x388b, v15
	v_add_f16_e32 v27, v28, v27
	v_fma_f16 v28, v18, s16, -v74
	v_add_f16_e32 v5, v6, v5
	v_fma_f16 v6, v18, s15, -v124
	v_add_f16_e32 v50, v50, v137
	v_add_f16_sdwa v49, v49, v0 dst_sel:DWORD dst_unused:UNUSED_PAD src0_sel:DWORD src1_sel:WORD_1
	v_add_f16_e32 v27, v28, v27
	v_fma_f16 v28, v20, s3, -v75
	v_add_f16_e32 v5, v6, v5
	v_fma_f16 v6, v20, s2, -v125
	v_add_f16_e32 v49, v50, v49
	v_mul_f16_e32 v50, 0x2fb7, v18
	v_add_f16_e32 v27, v28, v27
	v_fma_f16 v28, v22, s15, -v76
	v_add_f16_e32 v5, v6, v5
	v_fma_f16 v6, v22, s3, -v126
	v_add_f16_e32 v50, v57, v50
	v_add_f16_e32 v27, v28, v27
	v_fma_f16 v28, v23, s14, -v77
	v_add_f16_e32 v5, v6, v5
	v_fma_f16 v6, v23, s16, -v127
	v_add_f16_e32 v49, v50, v49
	v_mul_f16_e32 v50, 0xb5ac, v20
	v_add_f16_e32 v27, v28, v27
	v_fma_f16 v28, v12, s17, v78
	v_add_f16_e32 v5, v6, v5
	v_fma_f16 v6, v12, s14, v128
	v_add_f16_e32 v50, v59, v50
	v_add_f16_e32 v26, v29, v26
	;; [unrolled: 1-line block ×3, first 2 shown]
	v_fma_f16 v29, v13, s2, v80
	v_add_f16_e32 v6, v6, v0
	v_fma_f16 v7, v13, s17, v130
	v_add_f16_e32 v49, v50, v49
	v_mul_f16_e32 v50, 0xb9fd, v22
	v_add_f16_e32 v28, v29, v28
	v_fma_f16 v29, v16, s16, v81
	v_add_f16_e32 v6, v7, v6
	v_fma_f16 v7, v16, s15, v131
	v_add_f16_e32 v50, v62, v50
	v_add_f16_e32 v28, v29, v28
	v_fma_f16 v29, v17, s3, v84
	v_add_f16_e32 v6, v7, v6
	v_fma_f16 v7, v17, s2, v132
	v_add_f16_e32 v49, v50, v49
	v_mul_f16_e32 v50, 0xbbc4, v23
	v_add_f16_e32 v28, v29, v28
	v_fma_f16 v29, v19, s15, v85
	v_add_f16_e32 v6, v7, v6
	v_fma_f16 v7, v19, s3, v133
	v_add_f16_e32 v50, v65, v50
	v_add_f16_e32 v28, v29, v28
	v_fma_f16 v29, v21, s14, v86
	v_add_f16_e32 v6, v7, v6
	v_fma_f16 v7, v21, s16, v134
	v_add_f16_e32 v49, v50, v49
	v_mul_f16_e32 v50, 0x3b15, v12
	v_add_f16_e32 v28, v29, v28
	v_fma_f16 v29, v14, s16, -v87
	v_add_f16_e32 v6, v7, v6
	v_fma_f16 v7, v14, s3, -v53
	v_sub_f16_e32 v39, v50, v39
	v_mul_f16_e32 v50, 0x388b, v13
	v_add_f16_sdwa v29, v29, v0 dst_sel:DWORD dst_unused:UNUSED_PAD src0_sel:DWORD src1_sel:WORD_1
	v_fma_f16 v30, v15, s14, -v105
	v_add_f16_sdwa v7, v7, v0 dst_sel:DWORD dst_unused:UNUSED_PAD src0_sel:DWORD src1_sel:WORD_1
	v_fma_f16 v8, v15, s15, -v54
	v_sub_f16_e32 v48, v50, v48
	v_add_f16_e32 v39, v39, v0
	v_add_f16_e32 v29, v30, v29
	v_fma_f16 v30, v18, s3, -v106
	v_add_f16_e32 v7, v8, v7
	v_fma_f16 v8, v18, s17, -v64
	v_add_f16_e32 v39, v48, v39
	v_mul_f16_e32 v48, 0x2fb7, v16
	v_add_f16_e32 v29, v30, v29
	v_fma_f16 v30, v20, s17, -v107
	v_add_f16_e32 v7, v8, v7
	v_fma_f16 v8, v20, s16, -v67
	v_sub_f16_e32 v48, v48, v55
	v_add_f16_e32 v29, v30, v29
	v_fma_f16 v30, v22, s2, -v108
	v_add_f16_e32 v7, v8, v7
	v_fma_f16 v8, v22, s14, -v69
	v_add_f16_e32 v39, v48, v39
	v_mul_f16_e32 v48, 0xb5ac, v17
	v_add_f16_e32 v29, v30, v29
	v_fma_f16 v30, v23, s15, -v109
	v_add_f16_e32 v7, v8, v7
	v_fma_f16 v8, v23, s2, -v70
	v_sub_f16_e32 v48, v48, v56
	v_add_f16_e32 v29, v30, v29
	v_fma_f16 v30, v12, s16, v110
	v_add_f16_e32 v7, v8, v7
	v_fma_f16 v8, v12, s3, v51
	v_add_f16_e32 v39, v48, v39
	v_mul_f16_e32 v48, 0xb9fd, v19
	v_add_f16_e32 v26, v33, v26
	v_add_f16_e32 v30, v30, v0
	;; [unrolled: 1-line block ×3, first 2 shown]
	v_fma_f16 v8, v13, s15, v52
	v_sub_f16_e32 v48, v48, v58
	v_add_f16_e32 v26, v34, v26
	v_add_f16_e32 v0, v8, v0
	v_fma_f16 v8, v16, s17, v61
	v_add_f16_e32 v39, v48, v39
	v_mul_f16_e32 v48, 0xbbc4, v21
	v_add_f16_e32 v26, v35, v26
	v_add_f16_e32 v0, v8, v0
	v_fma_f16 v8, v17, s16, v63
	v_sub_f16_e32 v48, v48, v60
	v_add_f16_e32 v26, v36, v26
	v_fma_f16 v31, v13, s14, v112
	v_add_f16_e32 v0, v8, v0
	v_fma_f16 v8, v19, s14, v66
	v_add_f16_e32 v39, v48, v39
	v_add_f16_e32 v1, v38, v1
	;; [unrolled: 1-line block ×4, first 2 shown]
	v_fma_f16 v31, v16, s3, v113
	v_add_f16_e32 v0, v8, v0
	v_fma_f16 v8, v21, s2, v68
	v_add_f16_e32 v30, v31, v30
	;; [unrolled: 2-line block ×3, first 2 shown]
	v_lshl_add_u32 v8, v102, 2, v101
	v_pack_b32_f16 v9, v39, v49
	v_pack_b32_f16 v1, v1, v26
	v_add_f16_e32 v30, v31, v30
	v_fma_f16 v10, v19, s2, v10
	ds_write2_b32 v8, v1, v9 offset1:1
	v_pack_b32_f16 v1, v129, v122
	v_pack_b32_f16 v9, v136, v135
	v_add_f16_e32 v10, v10, v30
	v_fma_f16 v30, v21, s15, v111
	ds_write2_b32 v8, v9, v1 offset0:2 offset1:3
	v_pack_b32_f16 v1, v11, v104
	v_pack_b32_f16 v3, v115, v3
	v_add_f16_e32 v10, v30, v10
	ds_write2_b32 v8, v3, v1 offset0:4 offset1:5
	v_pack_b32_f16 v1, v28, v27
	v_pack_b32_f16 v3, v79, v72
	ds_write2_b32 v8, v3, v1 offset0:6 offset1:7
	v_pack_b32_f16 v1, v4, v2
	v_pack_b32_f16 v2, v10, v29
	;; [unrolled: 3-line block ×3, first 2 shown]
	s_mov_b32 s2, 0x5040100
	ds_write2_b32 v8, v1, v0 offset0:10 offset1:11
	v_perm_b32 v0, v83, v47, s2
	ds_write_b32 v8, v0 offset:48
.LBB0_7:
	s_or_b64 exec, exec, s[0:1]
	s_movk_i32 s16, 0x4f
	v_mul_lo_u16_sdwa v0, v42, s16 dst_sel:DWORD dst_unused:UNUSED_PAD src0_sel:BYTE_0 src1_sel:DWORD
	v_lshrrev_b16_e32 v39, 10, v0
	v_mul_lo_u16_e32 v0, 13, v39
	v_sub_u16_e32 v64, v42, v0
	v_mov_b32_e32 v16, 4
	v_lshlrev_b32_sdwa v0, v16, v64 dst_sel:DWORD dst_unused:UNUSED_PAD src0_sel:DWORD src1_sel:BYTE_0
	s_waitcnt lgkmcnt(0)
	s_barrier
	global_load_dwordx4 v[0:3], v0, s[8:9]
	v_mul_lo_u16_sdwa v4, v24, s16 dst_sel:DWORD dst_unused:UNUSED_PAD src0_sel:BYTE_0 src1_sel:DWORD
	v_lshrrev_b16_e32 v65, 10, v4
	v_mul_lo_u16_e32 v4, 13, v65
	v_sub_u16_e32 v66, v24, v4
	v_lshlrev_b32_sdwa v4, v16, v66 dst_sel:DWORD dst_unused:UNUSED_PAD src0_sel:DWORD src1_sel:BYTE_0
	ds_read2_b32 v[26:27], v45 offset1:39
	ds_read2_b32 v[20:21], v45 offset0:156 offset1:195
	global_load_dwordx4 v[4:7], v4, s[8:9]
	s_mov_b64 s[0:1], 0x4e
	v_lshl_add_u64 v[28:29], v[42:43], 0, s[0:1]
	v_mul_lo_u16_sdwa v8, v28, s16 dst_sel:DWORD dst_unused:UNUSED_PAD src0_sel:BYTE_0 src1_sel:DWORD
	v_lshrrev_b16_e32 v68, 10, v8
	v_mul_lo_u16_e32 v8, 13, v68
	v_sub_u16_e32 v69, v28, v8
	v_lshlrev_b32_sdwa v8, v16, v69 dst_sel:DWORD dst_unused:UNUSED_PAD src0_sel:DWORD src1_sel:BYTE_0
	v_add_u32_e32 v38, 0x400, v45
	ds_read2_b32 v[22:23], v45 offset0:78 offset1:117
	ds_read_b32 v67, v45 offset:3744
	ds_read2_b32 v[36:37], v38 offset0:134 offset1:173
	global_load_dwordx4 v[8:11], v8, s[8:9]
	s_mov_b64 s[2:3], 0x75
	v_lshl_add_u64 v[34:35], v[42:43], 0, s[2:3]
	v_mul_lo_u16_sdwa v12, v34, s16 dst_sel:DWORD dst_unused:UNUSED_PAD src0_sel:BYTE_0 src1_sel:DWORD
	v_lshrrev_b16_e32 v70, 10, v12
	v_mul_lo_u16_e32 v12, 13, v70
	v_sub_u16_e32 v71, v34, v12
	v_add_u32_e32 v31, 0x800, v45
	v_lshlrev_b32_sdwa v12, v16, v71 dst_sel:DWORD dst_unused:UNUSED_PAD src0_sel:DWORD src1_sel:BYTE_0
	v_add_u32_e32 v30, 0xc00, v45
	v_add_u32_e32 v84, 0x200, v45
	ds_read2_b32 v[48:49], v31 offset0:34 offset1:73
	ds_read2_b32 v[50:51], v30 offset0:12 offset1:51
	;; [unrolled: 1-line block ×8, first 2 shown]
	global_load_dwordx4 v[12:15], v12, s[8:9]
	s_mov_b64 s[14:15], 0x9c
	v_lshl_add_u64 v[32:33], v[42:43], 0, s[14:15]
	v_mul_lo_u16_sdwa v17, v32, s16 dst_sel:DWORD dst_unused:UNUSED_PAD src0_sel:BYTE_0 src1_sel:DWORD
	v_lshrrev_b16_e32 v72, 10, v17
	v_mul_lo_u16_e32 v17, 13, v72
	v_sub_u16_e32 v80, v32, v17
	v_lshlrev_b32_sdwa v16, v16, v80 dst_sel:DWORD dst_unused:UNUSED_PAD src0_sel:DWORD src1_sel:BYTE_0
	global_load_dwordx4 v[16:19], v16, s[8:9]
	s_waitcnt lgkmcnt(11)
	v_lshrrev_b32_e32 v74, 16, v21
	s_waitcnt lgkmcnt(8)
	v_lshrrev_b32_e32 v81, 16, v36
	;; [unrolled: 2-line block ×5, first 2 shown]
	v_lshrrev_b32_e32 v104, 16, v37
	s_waitcnt lgkmcnt(4)
	v_lshrrev_b32_e32 v105, 16, v54
	v_lshrrev_b32_e32 v106, 16, v51
	;; [unrolled: 1-line block ×3, first 2 shown]
	s_waitcnt lgkmcnt(3)
	v_lshrrev_b32_e32 v108, 16, v56
	v_lshrrev_b32_e32 v109, 16, v55
	s_waitcnt lgkmcnt(2)
	v_lshrrev_b32_e32 v110, 16, v58
	s_waitcnt lgkmcnt(1)
	v_lshrrev_b32_e32 v111, 16, v60
	v_lshrrev_b32_e32 v112, 16, v57
	s_waitcnt lgkmcnt(0)
	v_lshrrev_b32_e32 v113, 16, v62
	v_lshrrev_b32_e32 v114, 16, v59
	;; [unrolled: 1-line block ×6, first 2 shown]
	s_movk_i32 s1, 0x3b9c
	s_mov_b32 s3, 0xbb9c
	s_movk_i32 s0, 0x38b4
	s_mov_b32 s14, 0xb8b4
	s_movk_i32 s2, 0x34f2
	v_lshrrev_b32_e32 v73, 16, v26
	v_lshrrev_b32_e32 v75, 16, v27
	;; [unrolled: 1-line block ×5, first 2 shown]
	v_mul_u32_u24_e32 v39, 0x41, v39
	v_add_u32_sdwa v39, v39, v64 dst_sel:DWORD dst_unused:UNUSED_PAD src0_sel:DWORD src1_sel:BYTE_0
	s_barrier
	s_waitcnt vmcnt(4)
	v_mul_f16_sdwa v118, v74, v0 dst_sel:DWORD dst_unused:UNUSED_PAD src0_sel:DWORD src1_sel:WORD_1
	v_fma_f16 v118, v21, v0, -v118
	v_mul_f16_sdwa v21, v21, v0 dst_sel:DWORD dst_unused:UNUSED_PAD src0_sel:DWORD src1_sel:WORD_1
	v_fma_f16 v21, v74, v0, v21
	v_mul_f16_sdwa v74, v81, v1 dst_sel:DWORD dst_unused:UNUSED_PAD src0_sel:DWORD src1_sel:WORD_1
	v_fma_f16 v74, v36, v1, -v74
	v_mul_f16_sdwa v36, v36, v1 dst_sel:DWORD dst_unused:UNUSED_PAD src0_sel:DWORD src1_sel:WORD_1
	v_fma_f16 v36, v81, v1, v36
	v_mul_f16_sdwa v81, v85, v2 dst_sel:DWORD dst_unused:UNUSED_PAD src0_sel:DWORD src1_sel:WORD_1
	v_fma_f16 v81, v49, v2, -v81
	v_mul_f16_sdwa v49, v49, v2 dst_sel:DWORD dst_unused:UNUSED_PAD src0_sel:DWORD src1_sel:WORD_1
	v_fma_f16 v49, v85, v2, v49
	v_mul_f16_sdwa v85, v86, v3 dst_sel:DWORD dst_unused:UNUSED_PAD src0_sel:DWORD src1_sel:WORD_1
	v_fma_f16 v85, v50, v3, -v85
	v_mul_f16_sdwa v50, v50, v3 dst_sel:DWORD dst_unused:UNUSED_PAD src0_sel:DWORD src1_sel:WORD_1
	v_fma_f16 v50, v86, v3, v50
	s_waitcnt vmcnt(3)
	v_mul_f16_sdwa v86, v87, v4 dst_sel:DWORD dst_unused:UNUSED_PAD src0_sel:DWORD src1_sel:WORD_1
	v_fma_f16 v86, v52, v4, -v86
	v_mul_f16_sdwa v52, v52, v4 dst_sel:DWORD dst_unused:UNUSED_PAD src0_sel:DWORD src1_sel:WORD_1
	v_fma_f16 v52, v87, v4, v52
	v_mul_f16_sdwa v87, v104, v5 dst_sel:DWORD dst_unused:UNUSED_PAD src0_sel:DWORD src1_sel:WORD_1
	v_fma_f16 v87, v37, v5, -v87
	v_mul_f16_sdwa v37, v37, v5 dst_sel:DWORD dst_unused:UNUSED_PAD src0_sel:DWORD src1_sel:WORD_1
	v_fma_f16 v37, v104, v5, v37
	v_mul_f16_sdwa v104, v105, v6 dst_sel:DWORD dst_unused:UNUSED_PAD src0_sel:DWORD src1_sel:WORD_1
	v_fma_f16 v104, v54, v6, -v104
	v_mul_f16_sdwa v54, v54, v6 dst_sel:DWORD dst_unused:UNUSED_PAD src0_sel:DWORD src1_sel:WORD_1
	v_fma_f16 v54, v105, v6, v54
	v_mul_f16_sdwa v105, v106, v7 dst_sel:DWORD dst_unused:UNUSED_PAD src0_sel:DWORD src1_sel:WORD_1
	v_fma_f16 v105, v51, v7, -v105
	v_mul_f16_sdwa v51, v51, v7 dst_sel:DWORD dst_unused:UNUSED_PAD src0_sel:DWORD src1_sel:WORD_1
	v_fma_f16 v51, v106, v7, v51
	;; [unrolled: 17-line block ×4, first 2 shown]
	s_waitcnt vmcnt(0)
	v_mul_f16_sdwa v114, v115, v16 dst_sel:DWORD dst_unused:UNUSED_PAD src0_sel:DWORD src1_sel:WORD_1
	v_fma_f16 v114, v61, v16, -v114
	v_mul_f16_sdwa v61, v61, v16 dst_sel:DWORD dst_unused:UNUSED_PAD src0_sel:DWORD src1_sel:WORD_1
	v_fma_f16 v61, v115, v16, v61
	v_mul_f16_sdwa v115, v116, v17 dst_sel:DWORD dst_unused:UNUSED_PAD src0_sel:DWORD src1_sel:WORD_1
	v_fma_f16 v115, v48, v17, -v115
	v_mul_f16_sdwa v48, v48, v17 dst_sel:DWORD dst_unused:UNUSED_PAD src0_sel:DWORD src1_sel:WORD_1
	v_fma_f16 v48, v116, v17, v48
	v_mul_f16_sdwa v116, v117, v18 dst_sel:DWORD dst_unused:UNUSED_PAD src0_sel:DWORD src1_sel:WORD_1
	v_add_f16_e32 v119, v74, v81
	v_fma_f16 v116, v63, v18, -v116
	v_mul_f16_sdwa v63, v63, v18 dst_sel:DWORD dst_unused:UNUSED_PAD src0_sel:DWORD src1_sel:WORD_1
	v_fma_f16 v119, v119, -0.5, v26
	v_sub_f16_e32 v120, v21, v50
	v_fma_f16 v63, v117, v18, v63
	v_mul_f16_sdwa v117, v79, v19 dst_sel:DWORD dst_unused:UNUSED_PAD src0_sel:DWORD src1_sel:WORD_1
	v_fma_f16 v121, v120, s1, v119
	v_sub_f16_e32 v122, v36, v49
	v_sub_f16_e32 v123, v118, v74
	;; [unrolled: 1-line block ×3, first 2 shown]
	v_fma_f16 v119, v120, s3, v119
	v_fma_f16 v117, v67, v19, -v117
	v_mul_f16_sdwa v67, v67, v19 dst_sel:DWORD dst_unused:UNUSED_PAD src0_sel:DWORD src1_sel:WORD_1
	v_fma_f16 v121, v122, s0, v121
	v_add_f16_e32 v123, v123, v124
	v_fma_f16 v119, v122, s14, v119
	v_fma_f16 v67, v79, v19, v67
	v_add_f16_e32 v79, v26, v118
	v_fma_f16 v121, v123, s2, v121
	v_fma_f16 v119, v123, s2, v119
	v_add_f16_e32 v123, v118, v85
	v_add_f16_e32 v79, v79, v74
	v_fma_f16 v26, v123, -0.5, v26
	v_add_f16_e32 v79, v79, v81
	v_fma_f16 v123, v122, s3, v26
	v_fma_f16 v26, v122, s1, v26
	v_add_f16_e32 v122, v36, v49
	v_add_f16_e32 v79, v79, v85
	v_sub_f16_e32 v124, v74, v118
	v_sub_f16_e32 v125, v81, v85
	v_fma_f16 v122, v122, -0.5, v73
	v_sub_f16_e32 v85, v118, v85
	v_fma_f16 v123, v120, s0, v123
	v_add_f16_e32 v124, v124, v125
	v_fma_f16 v26, v120, s14, v26
	v_fma_f16 v118, v85, s3, v122
	v_sub_f16_e32 v74, v74, v81
	v_fma_f16 v123, v124, s2, v123
	v_fma_f16 v26, v124, s2, v26
	v_fma_f16 v81, v74, s14, v118
	v_sub_f16_e32 v118, v21, v36
	v_sub_f16_e32 v124, v50, v49
	v_fma_f16 v122, v85, s1, v122
	v_add_f16_e32 v120, v73, v21
	v_add_f16_e32 v118, v118, v124
	v_fma_f16 v122, v74, s0, v122
	v_add_f16_e32 v120, v120, v36
	v_fma_f16 v81, v118, s2, v81
	v_fma_f16 v118, v118, s2, v122
	v_add_f16_e32 v122, v21, v50
	v_add_f16_e32 v120, v120, v49
	v_fma_f16 v73, v122, -0.5, v73
	v_add_f16_e32 v120, v120, v50
	v_fma_f16 v122, v74, s1, v73
	v_sub_f16_e32 v21, v36, v21
	v_sub_f16_e32 v36, v49, v50
	v_add_f16_e32 v50, v87, v104
	v_fma_f16 v122, v85, s14, v122
	v_add_f16_e32 v21, v21, v36
	v_fma_f16 v49, v74, s3, v73
	v_fma_f16 v50, v50, -0.5, v27
	v_sub_f16_e32 v73, v52, v51
	v_fma_f16 v36, v21, s2, v122
	v_fma_f16 v49, v85, s0, v49
	;; [unrolled: 1-line block ×3, first 2 shown]
	v_sub_f16_e32 v85, v37, v54
	v_sub_f16_e32 v122, v86, v87
	v_sub_f16_e32 v124, v105, v104
	v_fma_f16 v50, v73, s3, v50
	v_fma_f16 v74, v85, s0, v74
	v_add_f16_e32 v122, v122, v124
	v_fma_f16 v50, v85, s14, v50
	v_fma_f16 v74, v122, s2, v74
	;; [unrolled: 1-line block ×3, first 2 shown]
	v_add_f16_e32 v122, v86, v105
	v_fma_f16 v21, v21, s2, v49
	v_add_f16_e32 v49, v27, v86
	v_fma_f16 v27, v122, -0.5, v27
	v_add_f16_e32 v49, v49, v87
	v_fma_f16 v122, v85, s3, v27
	v_fma_f16 v27, v85, s1, v27
	v_add_f16_e32 v85, v37, v54
	v_add_f16_e32 v49, v49, v104
	v_sub_f16_e32 v124, v87, v86
	v_sub_f16_e32 v125, v104, v105
	v_fma_f16 v85, v85, -0.5, v75
	v_sub_f16_e32 v86, v86, v105
	v_add_f16_e32 v49, v49, v105
	v_fma_f16 v122, v73, s0, v122
	v_add_f16_e32 v124, v124, v125
	v_fma_f16 v27, v73, s14, v27
	v_fma_f16 v105, v86, s3, v85
	v_sub_f16_e32 v87, v87, v104
	v_fma_f16 v122, v124, s2, v122
	v_fma_f16 v27, v124, s2, v27
	;; [unrolled: 1-line block ×3, first 2 shown]
	v_sub_f16_e32 v105, v52, v37
	v_sub_f16_e32 v124, v51, v54
	v_fma_f16 v85, v86, s1, v85
	v_add_f16_e32 v73, v75, v52
	v_add_f16_e32 v105, v105, v124
	v_fma_f16 v85, v87, s0, v85
	v_add_f16_e32 v73, v73, v37
	v_fma_f16 v125, v105, s2, v85
	v_add_f16_e32 v85, v52, v51
	v_add_f16_e32 v73, v73, v54
	v_fma_f16 v75, v85, -0.5, v75
	v_add_f16_e32 v73, v73, v51
	v_fma_f16 v85, v87, s1, v75
	v_sub_f16_e32 v37, v37, v52
	v_sub_f16_e32 v51, v54, v51
	v_add_f16_e32 v54, v107, v108
	v_fma_f16 v85, v86, s14, v85
	v_add_f16_e32 v37, v37, v51
	v_fma_f16 v52, v87, s3, v75
	v_fma_f16 v54, v54, -0.5, v22
	v_sub_f16_e32 v75, v53, v58
	v_fma_f16 v124, v105, s2, v104
	v_fma_f16 v51, v37, s2, v85
	v_fma_f16 v52, v86, s0, v52
	v_fma_f16 v85, v75, s1, v54
	v_sub_f16_e32 v86, v56, v55
	v_sub_f16_e32 v87, v106, v107
	;; [unrolled: 1-line block ×3, first 2 shown]
	v_fma_f16 v85, v86, s0, v85
	v_add_f16_e32 v87, v87, v104
	v_fma_f16 v126, v87, s2, v85
	v_fma_f16 v54, v75, s3, v54
	v_add_f16_e32 v85, v106, v109
	v_fma_f16 v37, v37, s2, v52
	v_add_f16_e32 v52, v22, v106
	v_fma_f16 v54, v86, s14, v54
	v_fma_f16 v22, v85, -0.5, v22
	v_fma_f16 v54, v87, s2, v54
	v_fma_f16 v85, v86, s3, v22
	v_sub_f16_e32 v87, v107, v106
	v_sub_f16_e32 v104, v108, v109
	v_fma_f16 v85, v75, s0, v85
	v_add_f16_e32 v87, v87, v104
	v_fma_f16 v127, v87, s2, v85
	v_fma_f16 v22, v86, s1, v22
	v_add_f16_e32 v85, v56, v55
	v_fma_f16 v22, v75, s14, v22
	v_fma_f16 v85, v85, -0.5, v76
	v_sub_f16_e32 v86, v106, v109
	v_fma_f16 v22, v87, s2, v22
	v_fma_f16 v87, v86, s3, v85
	v_sub_f16_e32 v104, v107, v108
	v_sub_f16_e32 v105, v53, v56
	;; [unrolled: 1-line block ×3, first 2 shown]
	v_fma_f16 v85, v86, s1, v85
	v_add_f16_e32 v75, v76, v53
	v_add_f16_e32 v105, v105, v106
	v_fma_f16 v85, v104, s0, v85
	v_add_f16_e32 v52, v52, v107
	v_add_f16_e32 v75, v75, v56
	;; [unrolled: 3-line block ×3, first 2 shown]
	v_fma_f16 v76, v85, -0.5, v76
	v_add_f16_e32 v75, v75, v58
	v_fma_f16 v85, v104, s1, v76
	v_sub_f16_e32 v53, v56, v53
	v_sub_f16_e32 v55, v55, v58
	v_add_f16_e32 v58, v111, v112
	v_fma_f16 v87, v104, s14, v87
	v_fma_f16 v85, v86, s14, v85
	v_add_f16_e32 v53, v53, v55
	v_fma_f16 v56, v104, s3, v76
	v_fma_f16 v58, v58, -0.5, v23
	v_sub_f16_e32 v76, v60, v59
	v_fma_f16 v87, v105, s2, v87
	v_fma_f16 v55, v53, s2, v85
	;; [unrolled: 1-line block ×4, first 2 shown]
	v_sub_f16_e32 v86, v57, v62
	v_sub_f16_e32 v104, v110, v111
	;; [unrolled: 1-line block ×3, first 2 shown]
	v_fma_f16 v85, v86, s0, v85
	v_add_f16_e32 v104, v104, v105
	v_add_f16_e32 v52, v52, v108
	v_fma_f16 v108, v104, s2, v85
	v_fma_f16 v58, v76, s3, v58
	v_add_f16_e32 v85, v110, v113
	v_fma_f16 v53, v53, s2, v56
	v_add_f16_e32 v56, v23, v110
	v_fma_f16 v58, v86, s14, v58
	v_fma_f16 v23, v85, -0.5, v23
	v_fma_f16 v58, v104, s2, v58
	v_fma_f16 v85, v86, s3, v23
	v_sub_f16_e32 v104, v111, v110
	v_sub_f16_e32 v105, v112, v113
	v_fma_f16 v85, v76, s0, v85
	v_add_f16_e32 v104, v104, v105
	v_add_f16_e32 v52, v52, v109
	v_fma_f16 v109, v104, s2, v85
	v_fma_f16 v23, v86, s1, v23
	v_add_f16_e32 v85, v57, v62
	v_fma_f16 v23, v76, s14, v23
	v_fma_f16 v85, v85, -0.5, v77
	v_sub_f16_e32 v86, v110, v113
	v_fma_f16 v23, v104, s2, v23
	v_fma_f16 v104, v86, s3, v85
	v_sub_f16_e32 v105, v111, v112
	v_sub_f16_e32 v106, v60, v57
	;; [unrolled: 1-line block ×3, first 2 shown]
	v_fma_f16 v85, v86, s1, v85
	v_add_f16_e32 v76, v77, v60
	v_add_f16_e32 v106, v106, v110
	v_fma_f16 v85, v105, s0, v85
	v_add_f16_e32 v56, v56, v111
	v_add_f16_e32 v76, v76, v57
	;; [unrolled: 3-line block ×3, first 2 shown]
	v_fma_f16 v77, v85, -0.5, v77
	v_add_f16_e32 v76, v76, v59
	v_fma_f16 v85, v105, s1, v77
	v_sub_f16_e32 v57, v57, v60
	v_sub_f16_e32 v59, v62, v59
	v_add_f16_e32 v62, v115, v116
	v_fma_f16 v104, v105, s14, v104
	v_fma_f16 v85, v86, s14, v85
	v_add_f16_e32 v57, v57, v59
	v_fma_f16 v60, v105, s3, v77
	v_fma_f16 v62, v62, -0.5, v20
	v_sub_f16_e32 v77, v61, v67
	v_fma_f16 v110, v106, s2, v104
	v_fma_f16 v59, v57, s2, v85
	;; [unrolled: 1-line block ×4, first 2 shown]
	v_sub_f16_e32 v86, v48, v63
	v_sub_f16_e32 v104, v114, v115
	;; [unrolled: 1-line block ×3, first 2 shown]
	v_fma_f16 v62, v77, s3, v62
	v_fma_f16 v85, v86, s0, v85
	v_add_f16_e32 v104, v104, v105
	v_fma_f16 v62, v86, s14, v62
	v_add_f16_e32 v56, v56, v112
	v_fma_f16 v112, v104, s2, v85
	v_fma_f16 v85, v104, s2, v62
	v_add_f16_e32 v62, v114, v117
	v_fma_f16 v57, v57, s2, v60
	v_add_f16_e32 v60, v20, v114
	v_fma_f16 v20, v62, -0.5, v20
	v_fma_f16 v62, v86, s3, v20
	v_sub_f16_e32 v104, v115, v114
	v_sub_f16_e32 v105, v116, v117
	v_fma_f16 v20, v86, s1, v20
	v_fma_f16 v62, v77, s0, v62
	v_add_f16_e32 v104, v104, v105
	v_fma_f16 v20, v77, s14, v20
	v_add_f16_e32 v86, v48, v63
	v_fma_f16 v62, v104, s2, v62
	v_fma_f16 v20, v104, s2, v20
	v_fma_f16 v86, v86, -0.5, v78
	v_sub_f16_e32 v104, v114, v117
	v_add_f16_e32 v56, v56, v113
	v_fma_f16 v105, v104, s3, v86
	v_sub_f16_e32 v106, v115, v116
	v_sub_f16_e32 v113, v61, v48
	;; [unrolled: 1-line block ×3, first 2 shown]
	v_fma_f16 v105, v106, s14, v105
	v_add_f16_e32 v113, v113, v114
	v_add_f16_e32 v77, v78, v61
	v_fma_f16 v114, v113, s2, v105
	v_add_f16_e32 v105, v61, v67
	v_add_f16_e32 v77, v77, v48
	v_fma_f16 v78, v105, -0.5, v78
	v_add_f16_e32 v77, v77, v63
	v_fma_f16 v105, v106, s1, v78
	v_sub_f16_e32 v48, v48, v61
	v_sub_f16_e32 v61, v63, v67
	v_fma_f16 v63, v106, s3, v78
	v_fma_f16 v86, v104, s1, v86
	;; [unrolled: 1-line block ×4, first 2 shown]
	v_lshl_add_u32 v104, v39, 2, v101
	v_pack_b32_f16 v36, v123, v36
	v_pack_b32_f16 v21, v26, v21
	ds_write2_b32 v104, v36, v21 offset0:26 offset1:39
	v_pack_b32_f16 v21, v119, v118
	ds_write_b32 v104, v21 offset:208
	v_mul_u32_u24_e32 v21, 0x41, v65
	v_add_f16_e32 v48, v48, v61
	v_add_u32_sdwa v21, v21, v66 dst_sel:DWORD dst_unused:UNUSED_PAD src0_sel:DWORD src1_sel:BYTE_0
	v_fma_f16 v61, v48, s2, v105
	v_fma_f16 v48, v48, s2, v63
	v_pack_b32_f16 v39, v79, v120
	v_pack_b32_f16 v63, v121, v81
	v_lshl_add_u32 v105, v21, 2, v101
	v_pack_b32_f16 v21, v49, v73
	v_pack_b32_f16 v26, v74, v124
	ds_write2_b32 v104, v39, v63 offset1:13
	ds_write2_b32 v105, v21, v26 offset1:13
	v_pack_b32_f16 v21, v122, v51
	v_pack_b32_f16 v26, v27, v37
	ds_write2_b32 v105, v21, v26 offset0:26 offset1:39
	v_pack_b32_f16 v21, v50, v125
	ds_write_b32 v105, v21 offset:208
	v_mul_u32_u24_e32 v21, 0x41, v68
	v_add_u32_sdwa v21, v21, v69 dst_sel:DWORD dst_unused:UNUSED_PAD src0_sel:DWORD src1_sel:BYTE_0
	v_fma_f16 v86, v106, s0, v86
	v_lshl_add_u32 v106, v21, 2, v101
	v_pack_b32_f16 v21, v52, v75
	v_pack_b32_f16 v26, v126, v87
	ds_write2_b32 v106, v21, v26 offset1:13
	v_pack_b32_f16 v21, v127, v55
	v_pack_b32_f16 v22, v22, v53
	ds_write2_b32 v106, v21, v22 offset0:26 offset1:39
	v_pack_b32_f16 v21, v54, v107
	ds_write_b32 v106, v21 offset:208
	v_mul_u32_u24_e32 v21, 0x41, v70
	v_add_u32_sdwa v21, v21, v71 dst_sel:DWORD dst_unused:UNUSED_PAD src0_sel:DWORD src1_sel:BYTE_0
	v_lshl_add_u32 v107, v21, 2, v101
	v_pack_b32_f16 v21, v56, v76
	v_pack_b32_f16 v22, v108, v110
	ds_write2_b32 v107, v21, v22 offset1:13
	v_pack_b32_f16 v21, v109, v59
	v_pack_b32_f16 v22, v23, v57
	v_add_f16_e32 v60, v60, v115
	ds_write2_b32 v107, v21, v22 offset0:26 offset1:39
	v_pack_b32_f16 v21, v58, v111
	v_add_f16_e32 v60, v60, v116
	ds_write_b32 v107, v21 offset:208
	v_mul_u32_u24_e32 v21, 0x41, v72
	v_add_f16_e32 v60, v60, v117
	v_add_f16_e32 v77, v77, v67
	v_add_u32_sdwa v21, v21, v80 dst_sel:DWORD dst_unused:UNUSED_PAD src0_sel:DWORD src1_sel:BYTE_0
	v_lshl_add_u32 v108, v21, 2, v101
	v_pack_b32_f16 v21, v60, v77
	v_pack_b32_f16 v22, v112, v114
	v_fma_f16 v86, v113, s2, v86
	ds_write2_b32 v108, v21, v22 offset1:13
	v_pack_b32_f16 v21, v62, v61
	v_pack_b32_f16 v20, v20, v48
	ds_write2_b32 v108, v21, v20 offset0:26 offset1:39
	v_pack_b32_f16 v20, v85, v86
	ds_write_b32 v108, v20 offset:208
	s_waitcnt lgkmcnt(0)
	s_barrier
	ds_read2_b32 v[36:37], v45 offset1:39
	ds_read2_b32 v[80:81], v38 offset0:69 offset1:108
	ds_read2_b32 v[76:77], v31 offset0:138 offset1:177
	;; [unrolled: 1-line block ×6, first 2 shown]
	v_add_u32_e32 v20, 0x600, v45
	ds_read2_b32 v[70:71], v20 offset0:97 offset1:136
	ds_read2_b32 v[68:69], v30 offset0:38 offset1:77
	;; [unrolled: 1-line block ×5, first 2 shown]
	v_cmp_gt_u16_e64 s[0:1], 13, v42
                                        ; implicit-def: $vgpr87
                                        ; implicit-def: $vgpr109
	s_and_saveexec_b64 s[2:3], s[0:1]
	s_cbranch_execz .LBB0_9
; %bb.8:
	ds_read_b32 v85, v45 offset:1248
	ds_read_b32 v47, v45 offset:2548
	;; [unrolled: 1-line block ×3, first 2 shown]
	s_waitcnt lgkmcnt(2)
	v_lshrrev_b32_e32 v86, 16, v85
	s_waitcnt lgkmcnt(1)
	v_lshrrev_b32_e32 v83, 16, v47
	;; [unrolled: 2-line block ×3, first 2 shown]
.LBB0_9:
	s_or_b64 exec, exec, s[2:3]
	s_mov_b64 s[2:3], 0xea
	v_lshl_add_u64 v[48:49], v[42:43], 0, s[2:3]
	s_movk_i32 s2, 0xffe6
	s_mov_b32 s3, -1
	v_lshl_add_u64 v[30:31], v[42:43], 0, s[2:3]
	v_cmp_gt_u16_e64 s[2:3], 26, v42
	v_lshl_add_u64 v[58:59], v[42:43], 3, s[8:9]
	global_load_dwordx2 v[50:51], v[58:59], off offset:208
	v_cndmask_b32_e64 v31, v31, v25, s[2:3]
	v_cndmask_b32_e64 v30, v30, v24, s[2:3]
	s_movk_i32 s2, 0xfd
	v_mul_lo_u16_sdwa v49, v32, s2 dst_sel:DWORD dst_unused:UNUSED_PAD src0_sel:BYTE_0 src1_sel:DWORD
	v_mul_lo_u16_sdwa v25, v34, s2 dst_sel:DWORD dst_unused:UNUSED_PAD src0_sel:BYTE_0 src1_sel:DWORD
	v_lshrrev_b16_e32 v49, 14, v49
	v_lshrrev_b16_e32 v110, 14, v25
	v_mul_lo_u16_e32 v49, 0x41, v49
	v_lshl_add_u64 v[52:53], v[30:31], 3, s[8:9]
	global_load_dwordx2 v[54:55], v[52:53], off offset:208
	v_mul_lo_u16_e32 v25, 0x41, v110
	v_sub_u16_e32 v49, v32, v49
	v_sub_u16_e32 v112, v34, v25
	v_mov_b32_e32 v25, 3
	v_and_b32_e32 v119, 0xff, v49
	v_lshlrev_b32_sdwa v25, v25, v112 dst_sel:DWORD dst_unused:UNUSED_PAD src0_sel:DWORD src1_sel:BYTE_0
	v_lshlrev_b32_e32 v49, 3, v119
	global_load_dwordx2 v[52:53], v25, s[8:9] offset:208
	global_load_dwordx2 v[56:57], v[58:59], off offset:312
	v_mov_b32_e32 v79, 0
	global_load_dwordx2 v[58:59], v49, s[8:9] offset:208
	v_add_u16_e32 v49, 0xc3, v42
	v_mul_lo_u16_sdwa v60, v49, s2 dst_sel:DWORD dst_unused:UNUSED_PAD src0_sel:BYTE_0 src1_sel:DWORD
	v_lshrrev_b16_e32 v60, 14, v60
	v_mul_lo_u16_e32 v60, 0x41, v60
	v_sub_u16_e32 v49, v49, v60
	v_and_b32_e32 v120, 0xff, v49
	v_lshlrev_b32_e32 v49, 3, v120
	s_movk_i32 s2, 0xfc1
	global_load_dwordx2 v[60:61], v49, s[8:9] offset:208
	v_mul_u32_u24_sdwa v49, v48, s2 dst_sel:DWORD dst_unused:UNUSED_PAD src0_sel:WORD_0 src1_sel:DWORD
	v_lshrrev_b32_e32 v121, 18, v49
	v_mul_lo_u16_e32 v49, 0x41, v121
	v_sub_u16_e32 v122, v48, v49
	v_lshlrev_b16_e32 v78, 3, v122
	v_add_u32_e32 v64, 0x111, v42
	v_lshl_add_u64 v[48:49], s[8:9], 0, v[78:79]
	global_load_dwordx2 v[62:63], v[48:49], off offset:208
	v_mul_u32_u24_sdwa v48, v64, s2 dst_sel:DWORD dst_unused:UNUSED_PAD src0_sel:WORD_0 src1_sel:DWORD
	v_lshrrev_b32_e32 v48, 18, v48
	v_mul_lo_u16_e32 v48, 0x41, v48
	v_sub_u16_e32 v123, v64, v48
	v_lshlrev_b16_e32 v78, 3, v123
	v_add_u32_e32 v25, 0x138, v42
	v_lshl_add_u64 v[48:49], s[8:9], 0, v[78:79]
	global_load_dwordx2 v[64:65], v[48:49], off offset:208
	v_mul_u32_u24_sdwa v48, v25, s2 dst_sel:DWORD dst_unused:UNUSED_PAD src0_sel:WORD_0 src1_sel:DWORD
	v_lshrrev_b32_e32 v48, 18, v48
	v_mul_lo_u16_e32 v48, 0x41, v48
	v_sub_u16_e32 v125, v25, v48
	v_lshlrev_b16_e32 v78, 3, v125
	v_lshl_add_u64 v[48:49], s[8:9], 0, v[78:79]
	global_load_dwordx2 v[48:49], v[48:49], off offset:208
	s_waitcnt lgkmcnt(10)
	v_lshrrev_b32_e32 v31, 16, v80
	s_waitcnt lgkmcnt(9)
	v_lshrrev_b32_e32 v111, 16, v76
	v_lshrrev_b32_e32 v114, 16, v81
	v_lshrrev_b32_e32 v115, 16, v77
	s_waitcnt lgkmcnt(7)
	v_lshrrev_b32_e32 v117, 16, v74
	s_waitcnt lgkmcnt(6)
	v_lshrrev_b32_e32 v118, 16, v72
	v_lshrrev_b32_e32 v25, 16, v75
	v_lshrrev_b32_e32 v78, 16, v73
	;; [unrolled: 6-line block ×4, first 2 shown]
	v_lshrrev_b32_e32 v43, 16, v36
	s_movk_i32 s2, 0x3aee
	s_mov_b32 s3, 0xbaee
	v_lshrrev_b32_e32 v113, 16, v37
	v_lshrrev_b32_e32 v116, 16, v26
	;; [unrolled: 1-line block ×7, first 2 shown]
	s_waitcnt vmcnt(8)
	v_mul_f16_sdwa v138, v31, v50 dst_sel:DWORD dst_unused:UNUSED_PAD src0_sel:DWORD src1_sel:WORD_1
	v_fma_f16 v138, v80, v50, -v138
	v_mul_f16_sdwa v80, v80, v50 dst_sel:DWORD dst_unused:UNUSED_PAD src0_sel:DWORD src1_sel:WORD_1
	v_fma_f16 v80, v31, v50, v80
	v_mul_f16_sdwa v31, v111, v51 dst_sel:DWORD dst_unused:UNUSED_PAD src0_sel:DWORD src1_sel:WORD_1
	v_fma_f16 v139, v76, v51, -v31
	v_mul_f16_sdwa v31, v76, v51 dst_sel:DWORD dst_unused:UNUSED_PAD src0_sel:DWORD src1_sel:WORD_1
	v_fma_f16 v76, v111, v51, v31
	s_barrier
	s_waitcnt vmcnt(7)
	v_mul_f16_sdwa v31, v114, v54 dst_sel:DWORD dst_unused:UNUSED_PAD src0_sel:DWORD src1_sel:WORD_1
	v_fma_f16 v111, v81, v54, -v31
	v_mul_f16_sdwa v31, v81, v54 dst_sel:DWORD dst_unused:UNUSED_PAD src0_sel:DWORD src1_sel:WORD_1
	v_fma_f16 v81, v114, v54, v31
	v_mul_f16_sdwa v31, v115, v55 dst_sel:DWORD dst_unused:UNUSED_PAD src0_sel:DWORD src1_sel:WORD_1
	v_fma_f16 v114, v77, v55, -v31
	v_mul_f16_sdwa v31, v77, v55 dst_sel:DWORD dst_unused:UNUSED_PAD src0_sel:DWORD src1_sel:WORD_1
	v_fma_f16 v77, v115, v55, v31
	s_waitcnt vmcnt(5)
	v_mul_f16_sdwa v31, v117, v56 dst_sel:DWORD dst_unused:UNUSED_PAD src0_sel:DWORD src1_sel:WORD_1
	v_fma_f16 v115, v74, v56, -v31
	v_mul_f16_sdwa v31, v74, v56 dst_sel:DWORD dst_unused:UNUSED_PAD src0_sel:DWORD src1_sel:WORD_1
	v_fma_f16 v74, v117, v56, v31
	v_mul_f16_sdwa v31, v118, v57 dst_sel:DWORD dst_unused:UNUSED_PAD src0_sel:DWORD src1_sel:WORD_1
	v_fma_f16 v117, v72, v57, -v31
	v_mul_f16_sdwa v31, v72, v57 dst_sel:DWORD dst_unused:UNUSED_PAD src0_sel:DWORD src1_sel:WORD_1
	v_fma_f16 v72, v118, v57, v31
	;; [unrolled: 4-line block ×4, first 2 shown]
	s_waitcnt vmcnt(4)
	v_mul_f16_sdwa v25, v127, v58 dst_sel:DWORD dst_unused:UNUSED_PAD src0_sel:DWORD src1_sel:WORD_1
	v_fma_f16 v78, v70, v58, -v25
	v_mul_f16_sdwa v25, v70, v58 dst_sel:DWORD dst_unused:UNUSED_PAD src0_sel:DWORD src1_sel:WORD_1
	v_fma_f16 v70, v127, v58, v25
	v_mul_f16_sdwa v25, v128, v59 dst_sel:DWORD dst_unused:UNUSED_PAD src0_sel:DWORD src1_sel:WORD_1
	v_fma_f16 v127, v68, v59, -v25
	v_mul_f16_sdwa v25, v68, v59 dst_sel:DWORD dst_unused:UNUSED_PAD src0_sel:DWORD src1_sel:WORD_1
	v_fma_f16 v68, v128, v59, v25
	s_waitcnt vmcnt(3)
	v_mul_f16_sdwa v25, v130, v60 dst_sel:DWORD dst_unused:UNUSED_PAD src0_sel:DWORD src1_sel:WORD_1
	v_fma_f16 v128, v71, v60, -v25
	v_mul_f16_sdwa v25, v71, v60 dst_sel:DWORD dst_unused:UNUSED_PAD src0_sel:DWORD src1_sel:WORD_1
	v_fma_f16 v71, v130, v60, v25
	v_mul_f16_sdwa v25, v131, v61 dst_sel:DWORD dst_unused:UNUSED_PAD src0_sel:DWORD src1_sel:WORD_1
	v_fma_f16 v130, v69, v61, -v25
	v_mul_f16_sdwa v25, v69, v61 dst_sel:DWORD dst_unused:UNUSED_PAD src0_sel:DWORD src1_sel:WORD_1
	v_fma_f16 v69, v131, v61, v25
	;; [unrolled: 9-line block ×3, first 2 shown]
	s_waitcnt vmcnt(1)
	v_mul_f16_sdwa v25, v136, v64 dst_sel:DWORD dst_unused:UNUSED_PAD src0_sel:DWORD src1_sel:WORD_1
	v_fma_f16 v141, v67, v64, -v25
	v_mul_f16_sdwa v25, v67, v64 dst_sel:DWORD dst_unused:UNUSED_PAD src0_sel:DWORD src1_sel:WORD_1
	v_fma_f16 v67, v136, v64, v25
	v_mul_f16_sdwa v25, v137, v65 dst_sel:DWORD dst_unused:UNUSED_PAD src0_sel:DWORD src1_sel:WORD_1
	v_fma_f16 v136, v39, v65, -v25
	v_mul_f16_sdwa v25, v39, v65 dst_sel:DWORD dst_unused:UNUSED_PAD src0_sel:DWORD src1_sel:WORD_1
	s_waitcnt vmcnt(0)
	v_mul_f16_sdwa v31, v47, v48 dst_sel:DWORD dst_unused:UNUSED_PAD src0_sel:DWORD src1_sel:WORD_1
	v_fma_f16 v137, v137, v65, v25
	v_mul_f16_sdwa v25, v83, v48 dst_sel:DWORD dst_unused:UNUSED_PAD src0_sel:DWORD src1_sel:WORD_1
	v_fma_f16 v38, v83, v48, v31
	v_add_f16_e32 v83, v138, v139
	v_fma_f16 v25, v47, v48, -v25
	v_mul_f16_sdwa v31, v109, v49 dst_sel:DWORD dst_unused:UNUSED_PAD src0_sel:DWORD src1_sel:WORD_1
	v_add_f16_e32 v47, v36, v138
	v_fma_f16 v36, v83, -0.5, v36
	v_sub_f16_e32 v83, v80, v76
	v_fma_f16 v31, v87, v49, -v31
	v_mul_f16_sdwa v39, v87, v49 dst_sel:DWORD dst_unused:UNUSED_PAD src0_sel:DWORD src1_sel:WORD_1
	v_fma_f16 v87, v83, s2, v36
	v_fma_f16 v36, v83, s3, v36
	v_add_f16_e32 v83, v43, v80
	v_add_f16_e32 v83, v83, v76
	v_add_f16_e32 v76, v80, v76
	v_fma_f16 v43, v76, -0.5, v43
	v_sub_f16_e32 v76, v138, v139
	v_fma_f16 v80, v76, s3, v43
	v_fma_f16 v76, v76, s2, v43
	v_add_f16_e32 v43, v37, v111
	v_add_f16_e32 v138, v43, v114
	;; [unrolled: 1-line block ×3, first 2 shown]
	v_fma_f16 v37, v43, -0.5, v37
	v_sub_f16_e32 v43, v81, v77
	v_add_f16_e32 v47, v47, v139
	v_fma_f16 v139, v43, s2, v37
	v_fma_f16 v37, v43, s3, v37
	v_add_f16_e32 v43, v113, v81
	v_add_f16_e32 v142, v43, v77
	v_add_f16_e32 v43, v81, v77
	v_fma_f16 v43, v43, -0.5, v113
	v_sub_f16_e32 v77, v111, v114
	v_fma_f16 v81, v77, s3, v43
	v_fma_f16 v77, v77, s2, v43
	v_add_f16_e32 v43, v26, v115
	v_add_f16_e32 v113, v43, v117
	v_add_f16_e32 v43, v115, v117
	v_fma_f16 v26, v43, -0.5, v26
	v_sub_f16_e32 v43, v74, v72
	;; [unrolled: 7-line block ×13, first 2 shown]
	v_fma_f16 v39, v109, v49, v39
	v_fma_f16 v135, v67, s3, v43
	;; [unrolled: 1-line block ×3, first 2 shown]
	v_add_f16_e32 v43, v25, v31
	v_fma_f16 v43, v43, -0.5, v85
	v_sub_f16_e32 v109, v38, v39
	v_fma_f16 v67, v109, s2, v43
	v_fma_f16 v43, v109, s3, v43
	v_add_f16_e32 v109, v38, v39
	v_fma_f16 v109, v109, -0.5, v86
	v_sub_f16_e32 v111, v25, v31
	v_pack_b32_f16 v36, v36, v76
	v_fma_f16 v118, v111, s3, v109
	v_fma_f16 v109, v111, s2, v109
	ds_write_b32 v45, v36 offset:520
	v_mov_b32_e32 v36, 0xc3
	v_cmp_lt_u16_e64 s[2:3], 25, v42
	v_pack_b32_f16 v47, v47, v83
	v_pack_b32_f16 v80, v87, v80
	v_cndmask_b32_e64 v36, 0, v36, s[2:3]
	v_add_u32_e32 v30, v30, v36
	v_lshl_add_u32 v111, v30, 2, v101
	v_pack_b32_f16 v30, v138, v142
	v_pack_b32_f16 v36, v139, v81
	ds_write2_b32 v45, v47, v80 offset1:65
	ds_write2_b32 v111, v30, v36 offset1:65
	v_pack_b32_f16 v30, v37, v77
	v_pack_b32_f16 v26, v26, v72
	ds_write_b32 v111, v30 offset:520
	ds_write_b32 v45, v26 offset:1352
	v_mul_u32_u24_e32 v26, 0xc3, v110
	v_pack_b32_f16 v30, v113, v143
	v_pack_b32_f16 v36, v114, v74
	v_add_u32_sdwa v26, v26, v112 dst_sel:DWORD dst_unused:UNUSED_PAD src0_sel:DWORD src1_sel:BYTE_0
	ds_write2_b32 v84, v30, v36 offset0:80 offset1:145
	v_lshl_add_u32 v112, v26, 2, v101
	v_pack_b32_f16 v26, v115, v117
	v_pack_b32_f16 v30, v116, v75
	ds_write2_b32 v112, v26, v30 offset1:65
	v_pack_b32_f16 v26, v27, v73
	v_lshl_add_u32 v113, v119, 2, v101
	ds_write_b32 v112, v26 offset:520
	v_pack_b32_f16 v26, v124, v144
	v_pack_b32_f16 v27, v140, v70
	v_add_u32_e32 v30, 0x400, v113
	v_pack_b32_f16 v22, v22, v68
	v_lshl_add_u32 v114, v120, 2, v101
	ds_write2_b32 v30, v26, v27 offset0:134 offset1:199
	ds_write_b32 v113, v22 offset:2080
	v_pack_b32_f16 v22, v78, v127
	v_pack_b32_f16 v26, v126, v71
	v_add_u32_e32 v27, 0x800, v114
	s_movk_i32 s14, 0xc3
	ds_write2_b32 v27, v22, v26 offset0:73 offset1:138
	v_pack_b32_f16 v22, v23, v69
	ds_write_b32 v114, v22 offset:2860
	v_mad_legacy_u16 v22, v121, s14, v122
	v_lshl_add_u32 v115, v22, 2, v101
	v_pack_b32_f16 v22, v128, v130
	v_pack_b32_f16 v23, v129, v131
	;; [unrolled: 1-line block ×3, first 2 shown]
	v_lshl_add_u32 v116, v123, 2, v101
	ds_write2_b32 v115, v22, v23 offset1:65
	ds_write_b32 v115, v20 offset:520
	v_pack_b32_f16 v20, v132, v134
	v_pack_b32_f16 v22, v133, v135
	v_add_u32_e32 v23, 0xc00, v116
	ds_write2_b32 v23, v20, v22 offset0:12 offset1:77
	v_pack_b32_f16 v20, v21, v136
	v_lshl_add_u32 v110, v125, 2, v101
	ds_write_b32 v116, v20 offset:3640
	s_and_saveexec_b64 s[2:3], s[0:1]
	s_cbranch_execz .LBB0_11
; %bb.10:
	v_add_f16_e32 v20, v86, v38
	v_add_f16_e32 v21, v85, v25
	;; [unrolled: 1-line block ×4, first 2 shown]
	s_mov_b32 s14, 0x5040100
	v_pack_b32_f16 v20, v21, v20
	v_perm_b32 v21, v118, v67, s14
	v_add_u32_e32 v22, 0xc00, v110
	ds_write2_b32 v22, v20, v21 offset0:12 offset1:77
	v_perm_b32 v20, v109, v43, s14
	ds_write_b32 v110, v20 offset:3640
.LBB0_11:
	s_or_b64 exec, exec, s[2:3]
	v_lshlrev_b32_e32 v20, 4, v42
	s_waitcnt lgkmcnt(0)
	s_barrier
	global_load_dwordx4 v[20:23], v20, s[8:9] offset:728
	v_lshlrev_b32_e32 v24, 4, v24
	global_load_dwordx4 v[24:27], v24, s[8:9] offset:728
	v_lshl_add_u64 v[28:29], v[28:29], 4, s[8:9]
	global_load_dwordx4 v[28:31], v[28:29], off offset:728
	v_add_u32_e32 v80, 0x400, v45
	v_lshl_add_u64 v[34:35], v[34:35], 4, s[8:9]
	ds_read2_b32 v[68:69], v45 offset1:39
	ds_read2_b32 v[76:77], v45 offset0:156 offset1:195
	v_add_u32_e32 v83, 0x800, v45
	v_add_u32_e32 v47, 0xc00, v45
	;; [unrolled: 1-line block ×3, first 2 shown]
	ds_read2_b32 v[70:71], v45 offset0:78 offset1:117
	ds_read_b32 v66, v45 offset:3744
	ds_read2_b32 v[72:73], v80 offset0:134 offset1:173
	ds_read2_b32 v[74:75], v83 offset0:34 offset1:73
	;; [unrolled: 1-line block ×4, first 2 shown]
	global_load_dwordx4 v[36:39], v[34:35], off offset:728
	v_lshl_add_u64 v[32:33], v[32:33], 4, s[8:9]
	ds_read2_b32 v[120:121], v83 offset0:112 offset1:151
	ds_read2_b32 v[122:123], v80 offset0:212 offset1:251
	;; [unrolled: 1-line block ×5, first 2 shown]
	global_load_dwordx4 v[32:35], v[32:33], off offset:728
	s_waitcnt lgkmcnt(11)
	v_lshrrev_b32_e32 v117, 16, v77
	s_waitcnt lgkmcnt(6)
	v_lshrrev_b32_e32 v140, 16, v85
	;; [unrolled: 2-line block ×4, first 2 shown]
	v_lshrrev_b32_e32 v143, 16, v121
	s_waitcnt lgkmcnt(2)
	v_lshrrev_b32_e32 v144, 16, v124
	s_waitcnt lgkmcnt(1)
	v_lshrrev_b32_e32 v145, 16, v126
	v_lshrrev_b32_e32 v146, 16, v123
	s_waitcnt lgkmcnt(0)
	v_lshrrev_b32_e32 v147, 16, v128
	v_lshrrev_b32_e32 v148, 16, v125
	v_lshrrev_b32_e32 v149, 16, v127
	v_lshrrev_b32_e32 v150, 16, v74
	v_lshrrev_b32_e32 v134, 16, v72
	v_lshrrev_b32_e32 v151, 16, v129
	v_lshrrev_b32_e32 v133, 16, v66
	v_lshrrev_b32_e32 v135, 16, v75
	v_lshrrev_b32_e32 v136, 16, v84
	s_movk_i32 s3, 0x3b9c
	s_mov_b32 s9, 0xbb9c
	s_movk_i32 s2, 0x38b4
	s_mov_b32 s14, 0xb8b4
	s_movk_i32 s8, 0x34f2
	v_lshrrev_b32_e32 v78, 16, v68
	v_lshrrev_b32_e32 v137, 16, v86
	;; [unrolled: 1-line block ×8, first 2 shown]
	s_waitcnt vmcnt(4)
	v_mul_f16_sdwa v152, v117, v20 dst_sel:DWORD dst_unused:UNUSED_PAD src0_sel:DWORD src1_sel:WORD_1
	v_mul_f16_sdwa v153, v77, v20 dst_sel:DWORD dst_unused:UNUSED_PAD src0_sel:DWORD src1_sel:WORD_1
	v_fma_f16 v77, v77, v20, -v152
	s_waitcnt vmcnt(3)
	v_mul_f16_sdwa v152, v140, v27 dst_sel:DWORD dst_unused:UNUSED_PAD src0_sel:DWORD src1_sel:WORD_1
	v_fma_f16 v152, v85, v27, -v152
	v_mul_f16_sdwa v85, v85, v27 dst_sel:DWORD dst_unused:UNUSED_PAD src0_sel:DWORD src1_sel:WORD_1
	v_fma_f16 v85, v140, v27, v85
	s_waitcnt vmcnt(2)
	v_mul_f16_sdwa v140, v141, v28 dst_sel:DWORD dst_unused:UNUSED_PAD src0_sel:DWORD src1_sel:WORD_1
	v_fma_f16 v140, v87, v28, -v140
	v_mul_f16_sdwa v87, v87, v28 dst_sel:DWORD dst_unused:UNUSED_PAD src0_sel:DWORD src1_sel:WORD_1
	v_fma_f16 v87, v141, v28, v87
	v_mul_f16_sdwa v141, v142, v29 dst_sel:DWORD dst_unused:UNUSED_PAD src0_sel:DWORD src1_sel:WORD_1
	v_fma_f16 v141, v122, v29, -v141
	v_mul_f16_sdwa v122, v122, v29 dst_sel:DWORD dst_unused:UNUSED_PAD src0_sel:DWORD src1_sel:WORD_1
	v_fma_f16 v122, v142, v29, v122
	;; [unrolled: 4-line block ×4, first 2 shown]
	s_waitcnt vmcnt(1)
	v_mul_f16_sdwa v144, v145, v36 dst_sel:DWORD dst_unused:UNUSED_PAD src0_sel:DWORD src1_sel:WORD_1
	v_fma_f16 v144, v126, v36, -v144
	v_mul_f16_sdwa v126, v126, v36 dst_sel:DWORD dst_unused:UNUSED_PAD src0_sel:DWORD src1_sel:WORD_1
	v_fma_f16 v126, v145, v36, v126
	v_mul_f16_sdwa v145, v146, v37 dst_sel:DWORD dst_unused:UNUSED_PAD src0_sel:DWORD src1_sel:WORD_1
	v_fma_f16 v145, v123, v37, -v145
	v_mul_f16_sdwa v123, v123, v37 dst_sel:DWORD dst_unused:UNUSED_PAD src0_sel:DWORD src1_sel:WORD_1
	v_fma_f16 v146, v146, v37, v123
	;; [unrolled: 4-line block ×4, first 2 shown]
	s_waitcnt vmcnt(0)
	v_mul_f16_sdwa v148, v149, v32 dst_sel:DWORD dst_unused:UNUSED_PAD src0_sel:DWORD src1_sel:WORD_1
	v_fma_f16 v148, v127, v32, -v148
	v_mul_f16_sdwa v127, v127, v32 dst_sel:DWORD dst_unused:UNUSED_PAD src0_sel:DWORD src1_sel:WORD_1
	v_fma_f16 v149, v149, v32, v127
	v_mul_f16_sdwa v127, v150, v33 dst_sel:DWORD dst_unused:UNUSED_PAD src0_sel:DWORD src1_sel:WORD_1
	v_fma_f16 v117, v117, v20, v153
	v_fma_f16 v153, v74, v33, -v127
	v_mul_f16_sdwa v74, v74, v33 dst_sel:DWORD dst_unused:UNUSED_PAD src0_sel:DWORD src1_sel:WORD_1
	v_mul_f16_sdwa v154, v134, v21 dst_sel:DWORD dst_unused:UNUSED_PAD src0_sel:DWORD src1_sel:WORD_1
	v_fma_f16 v150, v150, v33, v74
	v_mul_f16_sdwa v74, v151, v34 dst_sel:DWORD dst_unused:UNUSED_PAD src0_sel:DWORD src1_sel:WORD_1
	v_mul_f16_sdwa v155, v72, v21 dst_sel:DWORD dst_unused:UNUSED_PAD src0_sel:DWORD src1_sel:WORD_1
	v_fma_f16 v72, v72, v21, -v154
	v_fma_f16 v154, v129, v34, -v74
	v_mul_f16_sdwa v74, v129, v34 dst_sel:DWORD dst_unused:UNUSED_PAD src0_sel:DWORD src1_sel:WORD_1
	v_fma_f16 v151, v151, v34, v74
	v_mul_f16_sdwa v74, v133, v35 dst_sel:DWORD dst_unused:UNUSED_PAD src0_sel:DWORD src1_sel:WORD_1
	v_fma_f16 v129, v66, v35, -v74
	v_mul_f16_sdwa v66, v66, v35 dst_sel:DWORD dst_unused:UNUSED_PAD src0_sel:DWORD src1_sel:WORD_1
	v_mul_f16_sdwa v156, v135, v22 dst_sel:DWORD dst_unused:UNUSED_PAD src0_sel:DWORD src1_sel:WORD_1
	v_fma_f16 v133, v133, v35, v66
	v_add_f16_e32 v66, v68, v77
	v_mul_f16_sdwa v157, v75, v22 dst_sel:DWORD dst_unused:UNUSED_PAD src0_sel:DWORD src1_sel:WORD_1
	v_mul_f16_sdwa v158, v136, v23 dst_sel:DWORD dst_unused:UNUSED_PAD src0_sel:DWORD src1_sel:WORD_1
	v_fma_f16 v75, v75, v22, -v156
	v_add_f16_e32 v66, v66, v72
	v_mul_f16_sdwa v159, v84, v23 dst_sel:DWORD dst_unused:UNUSED_PAD src0_sel:DWORD src1_sel:WORD_1
	v_fma_f16 v84, v84, v23, -v158
	v_add_f16_e32 v66, v66, v75
	v_fma_f16 v134, v134, v21, v155
	v_fma_f16 v136, v136, v23, v159
	v_add_f16_e32 v155, v66, v84
	v_add_f16_e32 v66, v72, v75
	v_fma_f16 v135, v135, v22, v157
	v_fma_f16 v66, v66, -0.5, v68
	v_sub_f16_e32 v74, v117, v136
	v_fma_f16 v127, v74, s3, v66
	v_sub_f16_e32 v156, v134, v135
	v_sub_f16_e32 v157, v77, v72
	;; [unrolled: 1-line block ×3, first 2 shown]
	v_fma_f16 v66, v74, s9, v66
	v_fma_f16 v127, v156, s2, v127
	v_add_f16_e32 v157, v157, v158
	v_fma_f16 v66, v156, s14, v66
	v_fma_f16 v158, v157, s8, v127
	;; [unrolled: 1-line block ×3, first 2 shown]
	v_add_f16_e32 v66, v77, v84
	v_fma_f16 v66, v66, -0.5, v68
	v_fma_f16 v68, v156, s9, v66
	v_sub_f16_e32 v127, v72, v77
	v_sub_f16_e32 v159, v75, v84
	v_fma_f16 v66, v156, s3, v66
	v_add_f16_e32 v127, v127, v159
	v_fma_f16 v66, v74, s14, v66
	v_fma_f16 v156, v127, s8, v66
	v_add_f16_e32 v66, v78, v117
	v_add_f16_e32 v66, v66, v134
	v_mul_f16_sdwa v160, v137, v24 dst_sel:DWORD dst_unused:UNUSED_PAD src0_sel:DWORD src1_sel:WORD_1
	v_add_f16_e32 v66, v66, v135
	v_mul_f16_sdwa v161, v86, v24 dst_sel:DWORD dst_unused:UNUSED_PAD src0_sel:DWORD src1_sel:WORD_1
	v_fma_f16 v86, v86, v24, -v160
	v_fma_f16 v68, v74, s2, v68
	v_add_f16_e32 v160, v66, v136
	v_add_f16_e32 v66, v134, v135
	v_fma_f16 v159, v127, s8, v68
	v_fma_f16 v66, v66, -0.5, v78
	v_sub_f16_e32 v68, v77, v84
	v_fma_f16 v74, v68, s9, v66
	v_sub_f16_e32 v72, v72, v75
	v_sub_f16_e32 v75, v117, v134
	;; [unrolled: 1-line block ×3, first 2 shown]
	v_fma_f16 v66, v68, s3, v66
	v_add_f16_e32 v75, v75, v77
	v_fma_f16 v66, v72, s2, v66
	v_fma_f16 v137, v137, v24, v161
	;; [unrolled: 1-line block ×3, first 2 shown]
	v_add_f16_e32 v66, v117, v136
	v_fma_f16 v74, v72, s14, v74
	v_fma_f16 v66, v66, -0.5, v78
	v_fma_f16 v84, v75, s8, v74
	v_fma_f16 v74, v72, s3, v66
	v_sub_f16_e32 v75, v134, v117
	v_sub_f16_e32 v77, v135, v136
	v_fma_f16 v66, v72, s9, v66
	v_mul_f16_sdwa v162, v138, v25 dst_sel:DWORD dst_unused:UNUSED_PAD src0_sel:DWORD src1_sel:WORD_1
	v_add_f16_e32 v75, v75, v77
	v_fma_f16 v66, v68, s2, v66
	v_mul_f16_sdwa v163, v73, v25 dst_sel:DWORD dst_unused:UNUSED_PAD src0_sel:DWORD src1_sel:WORD_1
	v_mul_f16_sdwa v164, v139, v26 dst_sel:DWORD dst_unused:UNUSED_PAD src0_sel:DWORD src1_sel:WORD_1
	v_fma_f16 v73, v73, v25, -v162
	v_fma_f16 v117, v75, s8, v66
	v_add_f16_e32 v66, v69, v86
	v_mul_f16_sdwa v165, v120, v26 dst_sel:DWORD dst_unused:UNUSED_PAD src0_sel:DWORD src1_sel:WORD_1
	v_fma_f16 v120, v120, v26, -v164
	v_add_f16_e32 v66, v66, v73
	v_add_f16_e32 v66, v66, v120
	;; [unrolled: 1-line block ×4, first 2 shown]
	v_fma_f16 v138, v138, v25, v163
	v_fma_f16 v139, v139, v26, v165
	;; [unrolled: 1-line block ×3, first 2 shown]
	v_fma_f16 v66, v66, -0.5, v69
	v_sub_f16_e32 v68, v137, v85
	v_fma_f16 v78, v75, s8, v74
	v_fma_f16 v72, v68, s3, v66
	v_sub_f16_e32 v74, v138, v139
	v_sub_f16_e32 v75, v86, v73
	;; [unrolled: 1-line block ×3, first 2 shown]
	v_fma_f16 v66, v68, s9, v66
	v_add_f16_e32 v75, v75, v77
	v_fma_f16 v66, v74, s14, v66
	v_fma_f16 v136, v75, s8, v66
	v_add_f16_e32 v66, v86, v152
	v_fma_f16 v72, v74, s2, v72
	v_fma_f16 v66, v66, -0.5, v69
	v_fma_f16 v135, v75, s8, v72
	v_fma_f16 v69, v74, s9, v66
	v_sub_f16_e32 v72, v73, v86
	v_sub_f16_e32 v75, v120, v152
	v_fma_f16 v66, v74, s3, v66
	v_add_f16_e32 v72, v72, v75
	v_fma_f16 v66, v68, s14, v66
	v_fma_f16 v163, v72, s8, v66
	v_add_f16_e32 v66, v119, v137
	v_add_f16_e32 v66, v66, v138
	v_add_f16_e32 v66, v66, v139
	v_add_f16_e32 v164, v66, v85
	v_add_f16_e32 v66, v138, v139
	v_fma_f16 v69, v68, s2, v69
	v_fma_f16 v66, v66, -0.5, v119
	v_sub_f16_e32 v68, v86, v152
	v_fma_f16 v162, v72, s8, v69
	v_fma_f16 v69, v68, s9, v66
	v_sub_f16_e32 v72, v73, v120
	v_sub_f16_e32 v73, v137, v138
	;; [unrolled: 1-line block ×3, first 2 shown]
	v_fma_f16 v66, v68, s3, v66
	v_add_f16_e32 v73, v73, v74
	v_fma_f16 v66, v72, s2, v66
	v_fma_f16 v152, v73, s8, v66
	v_add_f16_e32 v66, v137, v85
	v_fma_f16 v69, v72, s14, v69
	v_fma_f16 v66, v66, -0.5, v119
	v_fma_f16 v86, v73, s8, v69
	v_fma_f16 v69, v72, s3, v66
	v_sub_f16_e32 v73, v138, v137
	v_sub_f16_e32 v74, v139, v85
	v_fma_f16 v66, v72, s9, v66
	v_add_f16_e32 v73, v73, v74
	v_fma_f16 v66, v68, s2, v66
	v_fma_f16 v137, v73, s8, v66
	v_add_f16_e32 v66, v70, v140
	v_add_f16_e32 v66, v66, v141
	;; [unrolled: 1-line block ×3, first 2 shown]
	v_fma_f16 v69, v68, s14, v69
	v_add_f16_e32 v138, v66, v121
	v_add_f16_e32 v66, v141, v142
	v_fma_f16 v85, v73, s8, v69
	v_fma_f16 v66, v66, -0.5, v70
	v_sub_f16_e32 v69, v87, v124
	v_fma_f16 v68, v69, s3, v66
	v_sub_f16_e32 v72, v122, v143
	v_sub_f16_e32 v73, v140, v141
	;; [unrolled: 1-line block ×3, first 2 shown]
	v_fma_f16 v66, v69, s9, v66
	v_fma_f16 v68, v72, s2, v68
	v_add_f16_e32 v73, v73, v74
	v_fma_f16 v66, v72, s14, v66
	v_fma_f16 v139, v73, s8, v68
	;; [unrolled: 1-line block ×3, first 2 shown]
	v_add_f16_e32 v66, v140, v121
	v_fma_f16 v66, v66, -0.5, v70
	v_fma_f16 v70, v72, s9, v66
	v_sub_f16_e32 v73, v141, v140
	v_sub_f16_e32 v74, v142, v121
	v_fma_f16 v66, v72, s3, v66
	v_add_f16_e32 v73, v73, v74
	v_fma_f16 v66, v69, s14, v66
	v_fma_f16 v119, v73, s8, v66
	v_add_f16_e32 v66, v130, v87
	v_add_f16_e32 v66, v66, v122
	;; [unrolled: 1-line block ×5, first 2 shown]
	v_fma_f16 v70, v69, s2, v70
	v_fma_f16 v66, v66, -0.5, v130
	v_sub_f16_e32 v69, v140, v121
	v_fma_f16 v165, v73, s8, v70
	v_fma_f16 v70, v69, s9, v66
	v_sub_f16_e32 v72, v141, v142
	v_sub_f16_e32 v73, v87, v122
	;; [unrolled: 1-line block ×3, first 2 shown]
	v_fma_f16 v66, v69, s3, v66
	v_add_f16_e32 v73, v73, v74
	v_fma_f16 v66, v72, s2, v66
	v_fma_f16 v121, v73, s8, v66
	v_add_f16_e32 v66, v87, v124
	v_fma_f16 v70, v72, s14, v70
	v_fma_f16 v66, v66, -0.5, v130
	v_fma_f16 v140, v73, s8, v70
	v_fma_f16 v70, v72, s3, v66
	v_sub_f16_e32 v73, v122, v87
	v_sub_f16_e32 v74, v143, v124
	v_fma_f16 v66, v72, s9, v66
	v_add_f16_e32 v73, v73, v74
	v_fma_f16 v66, v69, s2, v66
	v_fma_f16 v120, v73, s8, v66
	v_add_f16_e32 v66, v71, v144
	v_add_f16_e32 v66, v66, v145
	;; [unrolled: 1-line block ×3, first 2 shown]
	v_fma_f16 v70, v69, s14, v70
	v_add_f16_e32 v69, v66, v147
	v_add_f16_e32 v66, v145, v123
	v_fma_f16 v66, v66, -0.5, v71
	v_sub_f16_e32 v72, v126, v125
	v_fma_f16 v87, v73, s8, v70
	v_fma_f16 v70, v72, s3, v66
	v_sub_f16_e32 v74, v146, v128
	v_sub_f16_e32 v73, v144, v145
	;; [unrolled: 1-line block ×3, first 2 shown]
	v_fma_f16 v66, v72, s9, v66
	v_fma_f16 v70, v74, s2, v70
	v_add_f16_e32 v73, v73, v75
	v_fma_f16 v66, v74, s14, v66
	v_fma_f16 v70, v73, s8, v70
	;; [unrolled: 1-line block ×3, first 2 shown]
	v_add_f16_e32 v66, v144, v147
	v_fma_f16 v66, v66, -0.5, v71
	v_fma_f16 v71, v74, s9, v66
	v_sub_f16_e32 v75, v145, v144
	v_sub_f16_e32 v77, v123, v147
	v_fma_f16 v66, v74, s3, v66
	v_add_f16_e32 v75, v75, v77
	v_fma_f16 v66, v72, s14, v66
	v_fma_f16 v71, v72, s2, v71
	;; [unrolled: 1-line block ×3, first 2 shown]
	v_add_f16_e32 v66, v131, v126
	v_add_f16_e32 v66, v66, v146
	;; [unrolled: 1-line block ×5, first 2 shown]
	v_fma_f16 v66, v66, -0.5, v131
	v_sub_f16_e32 v74, v144, v147
	v_fma_f16 v71, v75, s8, v71
	v_fma_f16 v75, v74, s9, v66
	v_sub_f16_e32 v77, v145, v123
	v_sub_f16_e32 v123, v126, v146
	;; [unrolled: 1-line block ×3, first 2 shown]
	v_fma_f16 v66, v74, s3, v66
	v_fma_f16 v75, v77, s14, v75
	v_add_f16_e32 v124, v123, v124
	v_fma_f16 v66, v77, s2, v66
	v_fma_f16 v123, v124, s8, v75
	v_fma_f16 v124, v124, s8, v66
	v_add_f16_e32 v66, v126, v125
	v_fma_f16 v66, v66, -0.5, v131
	v_fma_f16 v75, v77, s3, v66
	v_sub_f16_e32 v126, v146, v126
	v_sub_f16_e32 v125, v128, v125
	v_fma_f16 v66, v77, s9, v66
	v_fma_f16 v75, v74, s14, v75
	v_add_f16_e32 v126, v126, v125
	v_fma_f16 v66, v74, s2, v66
	v_fma_f16 v125, v126, s8, v75
	;; [unrolled: 1-line block ×3, first 2 shown]
	v_add_f16_e32 v66, v76, v148
	v_add_f16_e32 v66, v66, v153
	;; [unrolled: 1-line block ×5, first 2 shown]
	v_fma_f16 v66, v66, -0.5, v76
	v_sub_f16_e32 v77, v149, v133
	v_fma_f16 v75, v77, s3, v66
	v_sub_f16_e32 v127, v150, v151
	v_sub_f16_e32 v128, v148, v153
	;; [unrolled: 1-line block ×3, first 2 shown]
	v_fma_f16 v66, v77, s9, v66
	v_fma_f16 v75, v127, s2, v75
	v_add_f16_e32 v128, v128, v130
	v_fma_f16 v66, v127, s14, v66
	v_fma_f16 v75, v128, s8, v75
	;; [unrolled: 1-line block ×3, first 2 shown]
	v_add_f16_e32 v128, v148, v129
	v_fma_f16 v128, v128, -0.5, v76
	v_fma_f16 v76, v127, s9, v128
	v_sub_f16_e32 v130, v153, v148
	v_sub_f16_e32 v131, v154, v129
	v_fma_f16 v127, v127, s3, v128
	v_fma_f16 v76, v77, s2, v76
	v_add_f16_e32 v130, v130, v131
	v_fma_f16 v77, v77, s14, v127
	v_add_f16_e32 v128, v150, v151
	v_fma_f16 v76, v130, s8, v76
	v_fma_f16 v77, v130, s8, v77
	v_fma_f16 v130, v128, -0.5, v132
	v_sub_f16_e32 v131, v148, v129
	v_fma_f16 v128, v131, s9, v130
	v_sub_f16_e32 v141, v153, v154
	v_sub_f16_e32 v129, v149, v150
	;; [unrolled: 1-line block ×3, first 2 shown]
	v_fma_f16 v130, v131, s3, v130
	v_fma_f16 v128, v141, s14, v128
	v_add_f16_e32 v129, v129, v142
	v_fma_f16 v130, v141, s2, v130
	v_fma_f16 v128, v129, s8, v128
	;; [unrolled: 1-line block ×3, first 2 shown]
	v_add_f16_e32 v130, v149, v133
	v_pack_b32_f16 v78, v159, v78
	v_add_f16_e32 v127, v132, v149
	v_fma_f16 v132, v130, -0.5, v132
	ds_write_b32 v45, v78 offset:1560
	v_pack_b32_f16 v78, v156, v117
	v_fma_f16 v130, v141, s3, v132
	v_fma_f16 v132, v141, s9, v132
	ds_write_b32 v45, v78 offset:2340
	v_pack_b32_f16 v78, v157, v161
	v_fma_f16 v130, v131, s14, v130
	v_fma_f16 v131, v131, s2, v132
	v_pack_b32_f16 v132, v155, v160
	v_pack_b32_f16 v84, v158, v84
	ds_write_b32 v45, v78 offset:3120
	v_pack_b32_f16 v78, v134, v164
	ds_write_b32 v45, v84 offset:780
	ds_write2_b32 v45, v132, v78 offset1:39
	v_pack_b32_f16 v78, v135, v86
	ds_write_b32 v45, v78 offset:936
	v_pack_b32_f16 v78, v162, v85
	ds_write_b32 v45, v78 offset:1716
	;; [unrolled: 2-line block ×3, first 2 shown]
	v_pack_b32_f16 v78, v136, v152
	v_add_f16_e32 v127, v127, v150
	ds_write_b32 v45, v78 offset:3276
	v_pack_b32_f16 v78, v138, v166
	v_lshl_add_u32 v117, v82, 2, v46
	v_pack_b32_f16 v86, v69, v122
	v_add_f16_e32 v127, v127, v151
	v_pack_b32_f16 v46, v139, v140
	ds_write2_b32 v45, v78, v86 offset0:78 offset1:117
	v_pack_b32_f16 v78, v70, v123
	v_add_u32_e32 v86, 0x400, v117
	v_add_f16_e32 v127, v127, v133
	v_sub_f16_e32 v142, v150, v149
	v_sub_f16_e32 v133, v151, v133
	v_pack_b32_f16 v82, v165, v87
	v_pack_b32_f16 v84, v119, v120
	ds_write2_b32 v86, v46, v78 offset0:17 offset1:56
	v_pack_b32_f16 v78, v72, v126
	v_add_u32_e32 v87, 0x800, v117
	v_add_f16_e32 v133, v142, v133
	ds_write2_b32 v87, v84, v78 offset0:151 offset1:190
	v_pack_b32_f16 v84, v74, v127
	v_fma_f16 v130, v133, s8, v130
	ds_write_b32 v45, v84 offset:624
	v_pack_b32_f16 v84, v75, v128
	v_fma_f16 v131, v133, s8, v131
	v_pack_b32_f16 v46, v71, v125
	ds_write2_b32 v86, v84, v82 offset0:95 offset1:212
	v_pack_b32_f16 v82, v76, v130
	v_add_u32_e32 v84, 0x600, v117
	v_pack_b32_f16 v85, v68, v121
	ds_write2_b32 v84, v46, v82 offset0:123 offset1:162
	v_pack_b32_f16 v46, v77, v131
	v_add_u32_e32 v82, 0xa00, v117
	;; [unrolled: 4-line block ×3, first 2 shown]
	ds_write2_b32 v82, v78, v46 offset0:129 offset1:168
	s_waitcnt lgkmcnt(0)
	s_barrier
	global_load_dword v46, v[40:41], off offset:3900
	s_add_u32 s8, s12, 0xf3c
	s_addc_u32 s9, s13, 0
	v_lshlrev_b32_e32 v78, 2, v42
	global_load_dword v82, v78, s[8:9] offset:300
	global_load_dword v132, v78, s[8:9] offset:600
	;; [unrolled: 1-line block ×12, first 2 shown]
	ds_read2_b32 v[84:85], v45 offset1:75
	s_waitcnt lgkmcnt(0)
	v_lshrrev_b32_e32 v86, 16, v84
	s_waitcnt vmcnt(12)
	v_mul_f16_sdwa v87, v86, v46 dst_sel:DWORD dst_unused:UNUSED_PAD src0_sel:DWORD src1_sel:WORD_1
	v_fma_f16 v87, v84, v46, -v87
	v_mul_f16_sdwa v84, v84, v46 dst_sel:DWORD dst_unused:UNUSED_PAD src0_sel:DWORD src1_sel:WORD_1
	v_fma_f16 v46, v86, v46, v84
	v_lshrrev_b32_e32 v84, 16, v85
	s_waitcnt vmcnt(11)
	v_mul_f16_sdwa v86, v84, v82 dst_sel:DWORD dst_unused:UNUSED_PAD src0_sel:DWORD src1_sel:WORD_1
	v_pack_b32_f16 v46, v87, v46
	v_fma_f16 v143, v85, v82, -v86
	ds_read2_b32 v[86:87], v45 offset0:150 offset1:225
	v_mul_f16_sdwa v85, v85, v82 dst_sel:DWORD dst_unused:UNUSED_PAD src0_sel:DWORD src1_sel:WORD_1
	v_fma_f16 v82, v84, v82, v85
	v_pack_b32_f16 v82, v143, v82
	ds_write2_b32 v45, v46, v82 offset1:75
	s_waitcnt lgkmcnt(1)
	v_lshrrev_b32_e32 v46, 16, v86
	s_waitcnt vmcnt(10)
	v_mul_f16_sdwa v82, v46, v132 dst_sel:DWORD dst_unused:UNUSED_PAD src0_sel:DWORD src1_sel:WORD_1
	v_mul_f16_sdwa v84, v86, v132 dst_sel:DWORD dst_unused:UNUSED_PAD src0_sel:DWORD src1_sel:WORD_1
	v_fma_f16 v82, v86, v132, -v82
	v_fma_f16 v46, v46, v132, v84
	v_pack_b32_f16 v46, v82, v46
	v_lshrrev_b32_e32 v82, 16, v87
	s_waitcnt vmcnt(9)
	v_mul_f16_sdwa v84, v82, v133 dst_sel:DWORD dst_unused:UNUSED_PAD src0_sel:DWORD src1_sel:WORD_1
	v_fma_f16 v86, v87, v133, -v84
	ds_read2_b32 v[84:85], v80 offset0:44 offset1:119
	v_mul_f16_sdwa v87, v87, v133 dst_sel:DWORD dst_unused:UNUSED_PAD src0_sel:DWORD src1_sel:WORD_1
	v_fma_f16 v82, v82, v133, v87
	v_pack_b32_f16 v82, v86, v82
	ds_write2_b32 v45, v46, v82 offset0:150 offset1:225
	s_waitcnt lgkmcnt(1)
	v_lshrrev_b32_e32 v46, 16, v84
	s_waitcnt vmcnt(8)
	v_mul_f16_sdwa v82, v46, v134 dst_sel:DWORD dst_unused:UNUSED_PAD src0_sel:DWORD src1_sel:WORD_1
	v_fma_f16 v82, v84, v134, -v82
	v_mul_f16_sdwa v84, v84, v134 dst_sel:DWORD dst_unused:UNUSED_PAD src0_sel:DWORD src1_sel:WORD_1
	v_fma_f16 v46, v46, v134, v84
	v_lshrrev_b32_e32 v84, 16, v85
	v_pack_b32_f16 v46, v82, v46
	s_waitcnt vmcnt(7)
	v_mul_f16_sdwa v82, v84, v135 dst_sel:DWORD dst_unused:UNUSED_PAD src0_sel:DWORD src1_sel:WORD_1
	v_fma_f16 v132, v85, v135, -v82
	v_add_u32_e32 v82, 0x600, v45
	ds_read2_b32 v[86:87], v82 offset0:66 offset1:141
	v_mul_f16_sdwa v85, v85, v135 dst_sel:DWORD dst_unused:UNUSED_PAD src0_sel:DWORD src1_sel:WORD_1
	v_fma_f16 v84, v84, v135, v85
	v_pack_b32_f16 v84, v132, v84
	ds_write2_b32 v80, v46, v84 offset0:44 offset1:119
	s_waitcnt lgkmcnt(1)
	v_lshrrev_b32_e32 v46, 16, v86
	s_waitcnt vmcnt(6)
	v_mul_f16_sdwa v84, v46, v136 dst_sel:DWORD dst_unused:UNUSED_PAD src0_sel:DWORD src1_sel:WORD_1
	v_mul_f16_sdwa v85, v86, v136 dst_sel:DWORD dst_unused:UNUSED_PAD src0_sel:DWORD src1_sel:WORD_1
	v_fma_f16 v84, v86, v136, -v84
	v_fma_f16 v46, v46, v136, v85
	v_lshrrev_b32_e32 v86, 16, v87
	v_pack_b32_f16 v46, v84, v46
	s_waitcnt vmcnt(5)
	v_mul_f16_sdwa v84, v86, v137 dst_sel:DWORD dst_unused:UNUSED_PAD src0_sel:DWORD src1_sel:WORD_1
	v_fma_f16 v132, v87, v137, -v84
	ds_read2_b32 v[84:85], v83 offset0:88 offset1:163
	v_mul_f16_sdwa v87, v87, v137 dst_sel:DWORD dst_unused:UNUSED_PAD src0_sel:DWORD src1_sel:WORD_1
	v_fma_f16 v86, v86, v137, v87
	v_pack_b32_f16 v86, v132, v86
	ds_write2_b32 v82, v46, v86 offset0:66 offset1:141
	s_waitcnt lgkmcnt(1)
	v_lshrrev_b32_e32 v46, 16, v84
	s_waitcnt vmcnt(4)
	v_mul_f16_sdwa v86, v46, v138 dst_sel:DWORD dst_unused:UNUSED_PAD src0_sel:DWORD src1_sel:WORD_1
	v_fma_f16 v86, v84, v138, -v86
	v_mul_f16_sdwa v84, v84, v138 dst_sel:DWORD dst_unused:UNUSED_PAD src0_sel:DWORD src1_sel:WORD_1
	v_fma_f16 v46, v46, v138, v84
	v_lshrrev_b32_e32 v84, 16, v85
	v_pack_b32_f16 v46, v86, v46
	s_waitcnt vmcnt(3)
	v_mul_f16_sdwa v86, v84, v139 dst_sel:DWORD dst_unused:UNUSED_PAD src0_sel:DWORD src1_sel:WORD_1
	v_add_u32_e32 v132, 0xa00, v45
	v_fma_f16 v133, v85, v139, -v86
	ds_read2_b32 v[86:87], v132 offset0:110 offset1:185
	v_mul_f16_sdwa v85, v85, v139 dst_sel:DWORD dst_unused:UNUSED_PAD src0_sel:DWORD src1_sel:WORD_1
	v_fma_f16 v84, v84, v139, v85
	v_pack_b32_f16 v84, v133, v84
	ds_write2_b32 v83, v46, v84 offset0:88 offset1:163
	s_waitcnt lgkmcnt(1)
	v_lshrrev_b32_e32 v46, 16, v86
	s_waitcnt vmcnt(2)
	v_mul_f16_sdwa v84, v46, v140 dst_sel:DWORD dst_unused:UNUSED_PAD src0_sel:DWORD src1_sel:WORD_1
	v_mul_f16_sdwa v85, v86, v140 dst_sel:DWORD dst_unused:UNUSED_PAD src0_sel:DWORD src1_sel:WORD_1
	v_fma_f16 v84, v86, v140, -v84
	v_fma_f16 v46, v46, v140, v85
	v_pack_b32_f16 v46, v84, v46
	v_lshrrev_b32_e32 v84, 16, v87
	ds_read_b32 v86, v45 offset:3600
	s_waitcnt vmcnt(1)
	v_mul_f16_sdwa v85, v84, v141 dst_sel:DWORD dst_unused:UNUSED_PAD src0_sel:DWORD src1_sel:WORD_1
	v_fma_f16 v85, v87, v141, -v85
	v_mul_f16_sdwa v87, v87, v141 dst_sel:DWORD dst_unused:UNUSED_PAD src0_sel:DWORD src1_sel:WORD_1
	v_fma_f16 v84, v84, v141, v87
	v_pack_b32_f16 v84, v85, v84
	ds_write2_b32 v132, v46, v84 offset0:110 offset1:185
	s_waitcnt lgkmcnt(1)
	v_lshrrev_b32_e32 v46, 16, v86
	s_waitcnt vmcnt(0)
	v_mul_f16_sdwa v84, v46, v142 dst_sel:DWORD dst_unused:UNUSED_PAD src0_sel:DWORD src1_sel:WORD_1
	v_mul_f16_sdwa v85, v86, v142 dst_sel:DWORD dst_unused:UNUSED_PAD src0_sel:DWORD src1_sel:WORD_1
	v_fma_f16 v84, v86, v142, -v84
	v_fma_f16 v46, v46, v142, v85
	v_pack_b32_f16 v46, v84, v46
	ds_write_b32 v45, v46 offset:3600
	s_and_saveexec_b64 s[2:3], vcc
	s_cbranch_execz .LBB0_13
; %bb.12:
	v_lshl_add_u64 v[78:79], s[8:9], 0, v[78:79]
	global_load_dword v86, v[78:79], off offset:156
	ds_read2_b32 v[84:85], v45 offset0:39 offset1:114
	s_waitcnt lgkmcnt(0)
	v_lshrrev_b32_e32 v46, 16, v84
	s_waitcnt vmcnt(0)
	v_mul_f16_sdwa v87, v46, v86 dst_sel:DWORD dst_unused:UNUSED_PAD src0_sel:DWORD src1_sel:WORD_1
	v_fma_f16 v87, v84, v86, -v87
	v_mul_f16_sdwa v84, v84, v86 dst_sel:DWORD dst_unused:UNUSED_PAD src0_sel:DWORD src1_sel:WORD_1
	v_fma_f16 v46, v46, v86, v84
	global_load_dword v86, v[78:79], off offset:456
	v_lshrrev_b32_e32 v84, 16, v85
	v_pack_b32_f16 v46, v87, v46
	s_waitcnt vmcnt(0)
	v_mul_f16_sdwa v87, v84, v86 dst_sel:DWORD dst_unused:UNUSED_PAD src0_sel:DWORD src1_sel:WORD_1
	v_fma_f16 v87, v85, v86, -v87
	v_mul_f16_sdwa v85, v85, v86 dst_sel:DWORD dst_unused:UNUSED_PAD src0_sel:DWORD src1_sel:WORD_1
	v_fma_f16 v84, v84, v86, v85
	global_load_dword v86, v[78:79], off offset:756
	v_pack_b32_f16 v84, v87, v84
	ds_write2_b32 v45, v46, v84 offset0:39 offset1:114
	ds_read2_b32 v[84:85], v81 offset0:61 offset1:136
	s_waitcnt lgkmcnt(0)
	v_lshrrev_b32_e32 v46, 16, v84
	s_waitcnt vmcnt(0)
	v_mul_f16_sdwa v87, v46, v86 dst_sel:DWORD dst_unused:UNUSED_PAD src0_sel:DWORD src1_sel:WORD_1
	v_fma_f16 v87, v84, v86, -v87
	v_mul_f16_sdwa v84, v84, v86 dst_sel:DWORD dst_unused:UNUSED_PAD src0_sel:DWORD src1_sel:WORD_1
	v_fma_f16 v46, v46, v86, v84
	global_load_dword v86, v[78:79], off offset:1056
	v_lshrrev_b32_e32 v84, 16, v85
	v_pack_b32_f16 v46, v87, v46
	s_waitcnt vmcnt(0)
	v_mul_f16_sdwa v87, v84, v86 dst_sel:DWORD dst_unused:UNUSED_PAD src0_sel:DWORD src1_sel:WORD_1
	v_fma_f16 v87, v85, v86, -v87
	v_mul_f16_sdwa v85, v85, v86 dst_sel:DWORD dst_unused:UNUSED_PAD src0_sel:DWORD src1_sel:WORD_1
	v_fma_f16 v84, v84, v86, v85
	v_pack_b32_f16 v84, v87, v84
	ds_write2_b32 v81, v46, v84 offset0:61 offset1:136
	global_load_dword v81, v[78:79], off offset:1356
	ds_read2_b32 v[84:85], v80 offset0:83 offset1:158
	s_waitcnt lgkmcnt(0)
	v_lshrrev_b32_e32 v46, 16, v84
	s_waitcnt vmcnt(0)
	v_mul_f16_sdwa v86, v46, v81 dst_sel:DWORD dst_unused:UNUSED_PAD src0_sel:DWORD src1_sel:WORD_1
	v_fma_f16 v86, v84, v81, -v86
	v_mul_f16_sdwa v84, v84, v81 dst_sel:DWORD dst_unused:UNUSED_PAD src0_sel:DWORD src1_sel:WORD_1
	v_fma_f16 v46, v46, v81, v84
	global_load_dword v84, v[78:79], off offset:1656
	v_lshrrev_b32_e32 v81, 16, v85
	v_pack_b32_f16 v46, v86, v46
	s_waitcnt vmcnt(0)
	v_mul_f16_sdwa v86, v81, v84 dst_sel:DWORD dst_unused:UNUSED_PAD src0_sel:DWORD src1_sel:WORD_1
	v_fma_f16 v86, v85, v84, -v86
	v_mul_f16_sdwa v85, v85, v84 dst_sel:DWORD dst_unused:UNUSED_PAD src0_sel:DWORD src1_sel:WORD_1
	v_fma_f16 v81, v81, v84, v85
	v_pack_b32_f16 v81, v86, v81
	ds_write2_b32 v80, v46, v81 offset0:83 offset1:158
	global_load_dword v81, v[78:79], off offset:1956
	;; [unrolled: 19-line block ×4, first 2 shown]
	ds_read2_b32 v[84:85], v47 offset0:21 offset1:96
	s_waitcnt lgkmcnt(0)
	v_lshrrev_b32_e32 v46, 16, v84
	s_waitcnt vmcnt(0)
	v_mul_f16_sdwa v86, v46, v81 dst_sel:DWORD dst_unused:UNUSED_PAD src0_sel:DWORD src1_sel:WORD_1
	v_fma_f16 v86, v84, v81, -v86
	v_mul_f16_sdwa v84, v84, v81 dst_sel:DWORD dst_unused:UNUSED_PAD src0_sel:DWORD src1_sel:WORD_1
	v_fma_f16 v46, v46, v81, v84
	global_load_dword v84, v[78:79], off offset:3456
	v_lshrrev_b32_e32 v81, 16, v85
	global_load_dword v78, v[78:79], off offset:3756
	v_pack_b32_f16 v46, v86, v46
	s_waitcnt vmcnt(1)
	v_mul_f16_sdwa v86, v81, v84 dst_sel:DWORD dst_unused:UNUSED_PAD src0_sel:DWORD src1_sel:WORD_1
	v_fma_f16 v86, v85, v84, -v86
	v_mul_f16_sdwa v85, v85, v84 dst_sel:DWORD dst_unused:UNUSED_PAD src0_sel:DWORD src1_sel:WORD_1
	v_fma_f16 v81, v81, v84, v85
	v_pack_b32_f16 v81, v86, v81
	ds_write2_b32 v47, v46, v81 offset0:21 offset1:96
	ds_read_b32 v46, v45 offset:3756
	s_waitcnt lgkmcnt(0)
	v_lshrrev_b32_e32 v47, 16, v46
	s_waitcnt vmcnt(0)
	v_mul_f16_sdwa v79, v47, v78 dst_sel:DWORD dst_unused:UNUSED_PAD src0_sel:DWORD src1_sel:WORD_1
	v_fma_f16 v79, v46, v78, -v79
	v_mul_f16_sdwa v46, v46, v78 dst_sel:DWORD dst_unused:UNUSED_PAD src0_sel:DWORD src1_sel:WORD_1
	v_fma_f16 v46, v47, v78, v46
	v_pack_b32_f16 v46, v79, v46
	ds_write_b32 v45, v46 offset:3756
.LBB0_13:
	s_or_b64 exec, exec, s[2:3]
	s_waitcnt lgkmcnt(0)
	s_barrier
	ds_read2_b32 v[46:47], v45 offset1:75
	ds_read2_b32 v[86:87], v45 offset0:150 offset1:225
	ds_read2_b32 v[84:85], v80 offset0:44 offset1:119
	;; [unrolled: 1-line block ×5, first 2 shown]
	ds_read_b32 v140, v45 offset:3600
	s_and_saveexec_b64 s[2:3], vcc
	s_cbranch_execz .LBB0_15
; %bb.14:
	v_lshl_add_u32 v66, v42, 2, v101
	v_add_u32_e32 v67, 0x400, v66
	ds_read2_b32 v[70:71], v67 offset0:8 offset1:83
	ds_read2_b32 v[72:73], v67 offset0:158 offset1:233
	v_add_u32_e32 v67, 0x800, v66
	ds_read2_b32 v[68:69], v66 offset0:114 offset1:189
	ds_read2_b32 v[74:75], v67 offset0:52 offset1:127
	v_add_u32_e32 v67, 0xa00, v66
	v_add_u32_e32 v66, 0xc00, v66
	ds_read_b32 v119, v45 offset:156
	ds_read2_b32 v[76:77], v67 offset0:74 offset1:149
	ds_read2_b32 v[66:67], v66 offset0:96 offset1:171
	s_waitcnt lgkmcnt(4)
	v_lshrrev_b32_e32 v121, 16, v68
	v_lshrrev_b32_e32 v122, 16, v69
	s_waitcnt lgkmcnt(2)
	v_lshrrev_b32_e32 v120, 16, v119
	v_lshrrev_b32_e32 v123, 16, v70
	;; [unrolled: 1-line block ×7, first 2 shown]
	s_waitcnt lgkmcnt(1)
	v_lshrrev_b32_e32 v130, 16, v76
	v_lshrrev_b32_e32 v131, 16, v77
	s_waitcnt lgkmcnt(0)
	v_lshrrev_b32_e32 v129, 16, v66
	v_lshrrev_b32_e32 v118, 16, v67
.LBB0_15:
	s_or_b64 exec, exec, s[2:3]
	s_waitcnt lgkmcnt(6)
	v_pk_add_f16 v132, v46, v47
	s_waitcnt lgkmcnt(0)
	v_pk_add_f16 v167, v47, v140 neg_lo:[0,1] neg_hi:[0,1]
	v_pk_add_f16 v132, v132, v86
	s_mov_b32 s27, 0xb770
	v_pk_add_f16 v132, v132, v87
	v_pk_add_f16 v166, v140, v47
	;; [unrolled: 1-line block ×3, first 2 shown]
	v_mul_f16_sdwa v47, v167, s27 dst_sel:DWORD dst_unused:UNUSED_PAD src0_sel:WORD_1 src1_sel:DWORD
	v_pk_add_f16 v132, v132, v85
	s_movk_i32 s8, 0x3b15
	v_pk_add_f16 v132, v132, v80
	v_pk_add_f16 v169, v86, v79 neg_lo:[0,1] neg_hi:[0,1]
	v_pk_add_f16 v132, v132, v81
	s_mov_b32 s23, 0xba95
	v_pk_add_f16 v165, v132, v82
	v_fma_f16 v132, v166, s8, v47
	v_pk_add_f16 v168, v79, v86
	v_mul_f16_sdwa v86, v169, s23 dst_sel:DWORD dst_unused:UNUSED_PAD src0_sel:WORD_1 src1_sel:DWORD
	s_movk_i32 s19, 0x388b
	v_add_f16_e32 v132, v46, v132
	v_mul_f16_sdwa v133, v166, s8 dst_sel:DWORD dst_unused:UNUSED_PAD src0_sel:WORD_1 src1_sel:DWORD
	s_movk_i32 s12, 0x3770
	v_fma_f16 v47, v166, s8, -v47
	v_fma_f16 v148, v168, s19, v86
	v_fma_f16 v134, v167, s12, v133
	v_add_f16_e32 v47, v46, v47
	v_fma_f16 v133, v167, s27, v133
	s_mov_b32 s17, 0xbbf1
	v_add_f16_e32 v132, v148, v132
	v_mul_f16_sdwa v148, v168, s19 dst_sel:DWORD dst_unused:UNUSED_PAD src0_sel:WORD_1 src1_sel:DWORD
	v_fma_f16 v86, v168, s19, -v86
	v_add_f16_sdwa v133, v46, v133 dst_sel:DWORD dst_unused:UNUSED_PAD src0_sel:WORD_1 src1_sel:DWORD
	v_mul_f16_sdwa v135, v167, s17 dst_sel:DWORD dst_unused:UNUSED_PAD src0_sel:WORD_1 src1_sel:DWORD
	s_movk_i32 s9, 0x2fb7
	v_add_f16_e32 v47, v86, v47
	v_fma_f16 v86, v169, s23, v148
	s_mov_b32 s24, 0xb3a8
	v_fma_f16 v136, v166, s9, v135
	s_movk_i32 s25, 0x3a95
	v_add_f16_e32 v86, v86, v133
	v_mul_f16_sdwa v133, v169, s24 dst_sel:DWORD dst_unused:UNUSED_PAD src0_sel:WORD_1 src1_sel:DWORD
	s_mov_b32 s22, 0xbbc4
	v_add_f16_e32 v136, v46, v136
	v_mul_f16_sdwa v137, v166, s9 dst_sel:DWORD dst_unused:UNUSED_PAD src0_sel:WORD_1 src1_sel:DWORD
	s_movk_i32 s13, 0x3bf1
	v_fma_f16 v135, v166, s9, -v135
	v_fma_f16 v149, v169, s25, v148
	v_fma_f16 v148, v168, s22, v133
	;; [unrolled: 1-line block ×3, first 2 shown]
	v_add_f16_e32 v135, v46, v135
	v_fma_f16 v137, v167, s17, v137
	s_mov_b32 s16, 0xbb7b
	v_add_f16_e32 v136, v148, v136
	v_mul_f16_sdwa v148, v168, s22 dst_sel:DWORD dst_unused:UNUSED_PAD src0_sel:WORD_1 src1_sel:DWORD
	v_fma_f16 v133, v168, s22, -v133
	v_add_f16_sdwa v137, v46, v137 dst_sel:DWORD dst_unused:UNUSED_PAD src0_sel:WORD_1 src1_sel:DWORD
	v_mul_f16_sdwa v139, v167, s16 dst_sel:DWORD dst_unused:UNUSED_PAD src0_sel:WORD_1 src1_sel:DWORD
	s_mov_b32 s14, 0xb5ac
	s_movk_i32 s18, 0x394e
	v_add_f16_e32 v133, v133, v135
	v_fma_f16 v135, v169, s24, v148
	v_add_f16_sdwa v134, v46, v134 dst_sel:DWORD dst_unused:UNUSED_PAD src0_sel:WORD_1 src1_sel:DWORD
	v_fma_f16 v141, v166, s14, v139
	s_mov_b32 s15, 0xb9fd
	s_movk_i32 s26, 0x33a8
	v_add_f16_e32 v135, v135, v137
	v_mul_f16_sdwa v137, v169, s18 dst_sel:DWORD dst_unused:UNUSED_PAD src0_sel:WORD_1 src1_sel:DWORD
	v_add_f16_e32 v141, v46, v141
	v_mul_f16_sdwa v142, v166, s14 dst_sel:DWORD dst_unused:UNUSED_PAD src0_sel:WORD_1 src1_sel:DWORD
	s_movk_i32 s20, 0x3b7b
	v_fma_f16 v139, v166, s14, -v139
	v_add_f16_e32 v134, v149, v134
	v_fma_f16 v149, v169, s26, v148
	v_fma_f16 v148, v168, s15, v137
	;; [unrolled: 1-line block ×3, first 2 shown]
	v_add_f16_e32 v139, v46, v139
	v_fma_f16 v142, v167, s16, v142
	s_mov_b32 s21, 0xb94e
	v_add_f16_e32 v141, v148, v141
	v_mul_f16_sdwa v148, v168, s15 dst_sel:DWORD dst_unused:UNUSED_PAD src0_sel:WORD_1 src1_sel:DWORD
	v_fma_f16 v137, v168, s15, -v137
	v_add_f16_sdwa v142, v46, v142 dst_sel:DWORD dst_unused:UNUSED_PAD src0_sel:WORD_1 src1_sel:DWORD
	v_mul_f16_sdwa v144, v167, s21 dst_sel:DWORD dst_unused:UNUSED_PAD src0_sel:WORD_1 src1_sel:DWORD
	v_add_f16_e32 v137, v137, v139
	v_fma_f16 v139, v169, s18, v148
	v_add_f16_sdwa v138, v46, v138 dst_sel:DWORD dst_unused:UNUSED_PAD src0_sel:WORD_1 src1_sel:DWORD
	v_fma_f16 v145, v166, s15, v144
	v_add_f16_e32 v139, v139, v142
	v_mul_f16_sdwa v142, v169, s13 dst_sel:DWORD dst_unused:UNUSED_PAD src0_sel:WORD_1 src1_sel:DWORD
	v_add_f16_e32 v145, v46, v145
	v_mul_f16_sdwa v146, v166, s15 dst_sel:DWORD dst_unused:UNUSED_PAD src0_sel:WORD_1 src1_sel:DWORD
	v_fma_f16 v144, v166, s15, -v144
	v_add_f16_e32 v138, v149, v138
	v_fma_f16 v149, v169, s21, v148
	v_fma_f16 v148, v168, s9, v142
	;; [unrolled: 1-line block ×3, first 2 shown]
	v_add_f16_e32 v144, v46, v144
	v_fma_f16 v146, v167, s21, v146
	v_add_f16_e32 v145, v148, v145
	v_mul_f16_sdwa v148, v168, s9 dst_sel:DWORD dst_unused:UNUSED_PAD src0_sel:WORD_1 src1_sel:DWORD
	v_fma_f16 v142, v168, s9, -v142
	v_pk_add_f16 v171, v87, v78 neg_lo:[0,1] neg_hi:[0,1]
	v_add_f16_sdwa v146, v46, v146 dst_sel:DWORD dst_unused:UNUSED_PAD src0_sel:WORD_1 src1_sel:DWORD
	v_add_f16_e32 v142, v142, v144
	v_fma_f16 v144, v169, s13, v148
	v_pk_add_f16 v170, v78, v87
	v_mul_f16_sdwa v87, v171, s17 dst_sel:DWORD dst_unused:UNUSED_PAD src0_sel:WORD_1 src1_sel:DWORD
	v_add_f16_e32 v144, v144, v146
	v_fma_f16 v146, v170, s9, v87
	v_add_f16_e32 v132, v146, v132
	v_mul_f16_sdwa v146, v170, s9 dst_sel:DWORD dst_unused:UNUSED_PAD src0_sel:WORD_1 src1_sel:DWORD
	v_fma_f16 v87, v170, s9, -v87
	v_add_f16_e32 v47, v87, v47
	v_fma_f16 v87, v171, s17, v146
	v_add_f16_sdwa v143, v46, v143 dst_sel:DWORD dst_unused:UNUSED_PAD src0_sel:WORD_1 src1_sel:DWORD
	v_add_f16_e32 v86, v87, v86
	v_mul_f16_sdwa v87, v171, s20 dst_sel:DWORD dst_unused:UNUSED_PAD src0_sel:WORD_1 src1_sel:DWORD
	v_add_f16_e32 v143, v149, v143
	v_fma_f16 v149, v169, s17, v148
	v_fma_f16 v148, v171, s13, v146
	;; [unrolled: 1-line block ×3, first 2 shown]
	v_add_f16_e32 v136, v146, v136
	v_mul_f16_sdwa v146, v170, s14 dst_sel:DWORD dst_unused:UNUSED_PAD src0_sel:WORD_1 src1_sel:DWORD
	v_fma_f16 v87, v170, s14, -v87
	v_add_f16_e32 v87, v87, v133
	v_fma_f16 v133, v171, s20, v146
	v_add_f16_e32 v133, v133, v135
	v_mul_f16_sdwa v135, v171, s12 dst_sel:DWORD dst_unused:UNUSED_PAD src0_sel:WORD_1 src1_sel:DWORD
	v_add_f16_e32 v134, v148, v134
	v_fma_f16 v148, v171, s16, v146
	v_fma_f16 v146, v170, s8, v135
	v_add_f16_e32 v141, v146, v141
	v_mul_f16_sdwa v146, v170, s8 dst_sel:DWORD dst_unused:UNUSED_PAD src0_sel:WORD_1 src1_sel:DWORD
	v_fma_f16 v135, v170, s8, -v135
	v_add_f16_e32 v135, v135, v137
	v_fma_f16 v137, v171, s12, v146
	v_add_f16_e32 v137, v137, v139
	v_mul_f16_sdwa v139, v171, s23 dst_sel:DWORD dst_unused:UNUSED_PAD src0_sel:WORD_1 src1_sel:DWORD
	v_add_f16_e32 v138, v148, v138
	v_fma_f16 v148, v171, s27, v146
	v_fma_f16 v146, v170, s19, v139
	v_add_f16_e32 v145, v146, v145
	v_mul_f16_sdwa v146, v170, s19 dst_sel:DWORD dst_unused:UNUSED_PAD src0_sel:WORD_1 src1_sel:DWORD
	v_fma_f16 v139, v170, s19, -v139
	v_pk_add_f16 v173, v84, v83 neg_lo:[0,1] neg_hi:[0,1]
	v_add_f16_e32 v139, v139, v142
	v_fma_f16 v142, v171, s23, v146
	v_pk_add_f16 v172, v83, v84
	v_mul_f16_sdwa v84, v173, s16 dst_sel:DWORD dst_unused:UNUSED_PAD src0_sel:WORD_1 src1_sel:DWORD
	v_pk_add_f16 v175, v85, v82 neg_lo:[0,1] neg_hi:[0,1]
	v_add_f16_e32 v142, v142, v144
	v_fma_f16 v144, v172, s14, v84
	v_pk_add_f16 v174, v82, v85
	v_mul_f16_sdwa v82, v175, s21 dst_sel:DWORD dst_unused:UNUSED_PAD src0_sel:WORD_1 src1_sel:DWORD
	v_add_f16_e32 v132, v144, v132
	v_mul_f16_sdwa v144, v172, s14 dst_sel:DWORD dst_unused:UNUSED_PAD src0_sel:WORD_1 src1_sel:DWORD
	v_fma_f16 v84, v172, s14, -v84
	v_fma_f16 v85, v174, s15, v82
	v_add_f16_e32 v47, v84, v47
	v_fma_f16 v84, v173, s16, v144
	v_add_f16_e32 v176, v85, v132
	v_mul_f16_sdwa v85, v174, s15 dst_sel:DWORD dst_unused:UNUSED_PAD src0_sel:WORD_1 src1_sel:DWORD
	v_fma_f16 v82, v174, s15, -v82
	v_add_f16_e32 v84, v84, v86
	v_mul_f16_sdwa v86, v173, s12 dst_sel:DWORD dst_unused:UNUSED_PAD src0_sel:WORD_1 src1_sel:DWORD
	v_add_f16_e32 v178, v82, v47
	v_fma_f16 v47, v175, s21, v85
	v_add_f16_e32 v143, v148, v143
	v_fma_f16 v148, v171, s25, v146
	v_fma_f16 v146, v173, s20, v144
	;; [unrolled: 1-line block ×3, first 2 shown]
	v_add_f16_e32 v179, v47, v84
	v_mul_f16_sdwa v47, v175, s23 dst_sel:DWORD dst_unused:UNUSED_PAD src0_sel:WORD_1 src1_sel:DWORD
	v_add_f16_e32 v136, v144, v136
	v_mul_f16_sdwa v144, v172, s8 dst_sel:DWORD dst_unused:UNUSED_PAD src0_sel:WORD_1 src1_sel:DWORD
	v_fma_f16 v86, v172, s8, -v86
	v_fma_f16 v82, v174, s19, v47
	v_add_f16_e32 v86, v86, v87
	v_fma_f16 v87, v173, s12, v144
	v_add_f16_e32 v180, v82, v136
	v_mul_f16_sdwa v82, v174, s19 dst_sel:DWORD dst_unused:UNUSED_PAD src0_sel:WORD_1 src1_sel:DWORD
	v_fma_f16 v47, v174, s19, -v47
	v_add_f16_e32 v87, v87, v133
	v_mul_f16_sdwa v133, v173, s17 dst_sel:DWORD dst_unused:UNUSED_PAD src0_sel:WORD_1 src1_sel:DWORD
	v_add_f16_e32 v182, v47, v86
	v_fma_f16 v47, v175, s23, v82
	v_add_f16_e32 v134, v146, v134
	v_fma_f16 v146, v173, s27, v144
	v_fma_f16 v144, v172, s9, v133
	v_add_f16_e32 v183, v47, v87
	v_mul_f16_sdwa v47, v175, s26 dst_sel:DWORD dst_unused:UNUSED_PAD src0_sel:WORD_1 src1_sel:DWORD
	v_add_f16_e32 v141, v144, v141
	v_mul_f16_sdwa v144, v172, s9 dst_sel:DWORD dst_unused:UNUSED_PAD src0_sel:WORD_1 src1_sel:DWORD
	v_fma_f16 v133, v172, s9, -v133
	v_fma_f16 v84, v175, s25, v82
	v_fma_f16 v82, v174, s22, v47
	v_add_f16_e32 v133, v133, v135
	v_fma_f16 v135, v173, s17, v144
	v_add_f16_e32 v184, v82, v141
	v_mul_f16_sdwa v82, v174, s22 dst_sel:DWORD dst_unused:UNUSED_PAD src0_sel:WORD_1 src1_sel:DWORD
	v_fma_f16 v47, v174, s22, -v47
	v_add_f16_e32 v135, v135, v137
	v_mul_f16_sdwa v137, v173, s26 dst_sel:DWORD dst_unused:UNUSED_PAD src0_sel:WORD_1 src1_sel:DWORD
	v_add_f16_e32 v186, v47, v133
	v_fma_f16 v47, v175, s26, v82
	v_add_f16_sdwa v147, v46, v147 dst_sel:DWORD dst_unused:UNUSED_PAD src0_sel:WORD_1 src1_sel:DWORD
	v_add_f16_e32 v138, v146, v138
	v_fma_f16 v146, v173, s13, v144
	v_fma_f16 v144, v172, s22, v137
	v_add_f16_e32 v187, v47, v135
	v_mul_f16_sdwa v47, v175, s12 dst_sel:DWORD dst_unused:UNUSED_PAD src0_sel:WORD_1 src1_sel:DWORD
	v_pk_add_f16 v192, v80, v81 neg_lo:[0,1] neg_hi:[0,1]
	v_pk_add_f16 v80, v81, v80
	v_pk_add_f16 v81, v165, v83
	v_add_f16_e32 v147, v149, v147
	v_add_f16_e32 v144, v144, v145
	v_mul_f16_sdwa v145, v172, s22 dst_sel:DWORD dst_unused:UNUSED_PAD src0_sel:WORD_1 src1_sel:DWORD
	v_fma_f16 v137, v172, s22, -v137
	v_fma_f16 v132, v175, s18, v85
	v_add_f16_e32 v181, v84, v138
	v_fma_f16 v84, v175, s24, v82
	v_fma_f16 v82, v174, s8, v47
	v_pk_mul_f16 v193, v192, s24 op_sel_hi:[1,0]
	v_pk_add_f16 v78, v81, v78
	v_add_f16_e32 v147, v148, v147
	v_add_f16_e32 v143, v146, v143
	v_fma_f16 v146, v173, s24, v145
	v_add_f16_e32 v137, v137, v139
	v_fma_f16 v139, v173, s26, v145
	v_add_f16_e32 v177, v132, v134
	v_add_f16_e32 v188, v82, v144
	v_mul_f16_sdwa v82, v174, s8 dst_sel:DWORD dst_unused:UNUSED_PAD src0_sel:WORD_1 src1_sel:DWORD
	v_fma_f16 v47, v174, s8, -v47
	v_pk_fma_f16 v83, v80, s22, v193 op_sel:[0,0,1] op_sel_hi:[1,0,0]
	v_pk_add_f16 v78, v78, v79
	v_pk_fma_f16 v79, v80, s22, v193 op_sel:[0,0,1] op_sel_hi:[1,0,0] neg_lo:[0,0,1] neg_hi:[0,0,1]
	s_mov_b32 s2, 0xffff
	v_add_f16_e32 v146, v146, v147
	v_add_f16_e32 v139, v139, v142
	;; [unrolled: 1-line block ×3, first 2 shown]
	v_fma_f16 v47, v175, s12, v82
	v_sub_f16_e32 v147, v121, v118
	v_pk_mul_f16 v81, v80, s22 op_sel_hi:[1,0]
	v_bfi_b32 v79, s2, v83, v79
	v_pack_b32_f16 v83, v176, v177
	v_add_f16_e32 v191, v47, v139
	v_mul_f16_sdwa v194, v192, s21 dst_sel:DWORD dst_unused:UNUSED_PAD src0_sel:WORD_1 src1_sel:DWORD
	v_add_f16_e32 v47, v67, v68
	v_add_f16_e32 v154, v118, v121
	v_mul_f16_e32 v141, 0xb770, v147
	v_sub_f16_e32 v150, v122, v129
	v_pk_add_f16 v79, v79, v83
	v_sub_f16_sdwa v83, v81, v193 dst_sel:DWORD dst_unused:UNUSED_PAD src0_sel:DWORD src1_sel:WORD_1
	v_add_f16_sdwa v81, v193, v81 dst_sel:DWORD dst_unused:UNUSED_PAD src0_sel:DWORD src1_sel:WORD_1
	v_add_f16_e32 v185, v84, v143
	v_fma_f16 v84, v175, s27, v82
	v_sub_f16_e32 v86, v68, v67
	v_mul_f16_e32 v143, 0x3b15, v154
	v_fma_f16 v82, v47, s8, -v141
	v_add_f16_e32 v85, v66, v69
	v_add_f16_e32 v157, v129, v122
	v_mul_f16_e32 v142, 0xba95, v150
	v_pk_add_f16 v78, v78, v140
	v_add_f16_e32 v81, v81, v179
	v_fma_f16 v140, v80, s15, v194
	v_mul_f16_sdwa v165, v80, s15 dst_sel:DWORD dst_unused:UNUSED_PAD src0_sel:WORD_1 src1_sel:DWORD
	v_mul_f16_sdwa v179, v80, s19 dst_sel:DWORD dst_unused:UNUSED_PAD src0_sel:WORD_1 src1_sel:DWORD
	v_add_f16_e32 v189, v84, v146
	v_mul_f16_sdwa v195, v192, s25 dst_sel:DWORD dst_unused:UNUSED_PAD src0_sel:WORD_1 src1_sel:DWORD
	v_mul_f16_sdwa v196, v192, s16 dst_sel:DWORD dst_unused:UNUSED_PAD src0_sel:WORD_1 src1_sel:DWORD
	v_add_f16_e32 v82, v119, v82
	v_fma_f16 v84, v86, s27, v143
	v_sub_f16_e32 v132, v69, v66
	v_mul_f16_e32 v145, 0x388b, v157
	v_fma_f16 v87, v85, s19, -v142
	s_barrier
	v_add_f16_e32 v140, v140, v180
	v_fma_f16 v176, v192, s18, v165
	v_fma_f16 v177, v80, s15, -v194
	v_fma_f16 v165, v192, s21, v165
	v_fma_f16 v180, v192, s23, v179
	;; [unrolled: 1-line block ×3, first 2 shown]
	ds_write2_b32 v103, v78, v79 offset1:1
	v_pk_mul_f16 v78, v167, s23 op_sel_hi:[1,0]
	v_add_f16_e32 v84, v120, v84
	v_add_f16_e32 v82, v87, v82
	v_fma_f16 v87, v132, s23, v145
	v_sub_f16_e32 v153, v123, v131
	v_add_f16_e32 v83, v83, v178
	v_add_f16_e32 v176, v176, v181
	;; [unrolled: 1-line block ×4, first 2 shown]
	v_fma_f16 v178, v80, s19, v195
	v_fma_f16 v181, v80, s19, -v195
	v_add_f16_e32 v179, v179, v187
	v_fma_f16 v182, v80, s14, v196
	v_mul_f16_sdwa v183, v80, s14 dst_sel:DWORD dst_unused:UNUSED_PAD src0_sel:WORD_1 src1_sel:DWORD
	v_pk_fma_f16 v79, v166, s19, v78 op_sel:[0,0,1] op_sel_hi:[1,0,0]
	v_pk_fma_f16 v78, v166, s19, v78 op_sel:[0,0,1] op_sel_hi:[1,0,0] neg_lo:[0,0,1] neg_hi:[0,0,1]
	v_pk_mul_f16 v187, v169, s16 op_sel_hi:[1,0]
	v_add_f16_e32 v84, v87, v84
	v_add_f16_e32 v87, v77, v70
	v_add_f16_e32 v160, v131, v123
	v_mul_f16_e32 v144, 0xbbf1, v153
	v_add_f16_e32 v178, v178, v184
	v_add_f16_e32 v181, v181, v186
	;; [unrolled: 1-line block ×3, first 2 shown]
	v_fma_f16 v184, v192, s20, v183
	v_bfi_b32 v186, s2, v79, v78
	v_pk_fma_f16 v188, v168, s14, v187 op_sel:[0,0,1] op_sel_hi:[1,0,0]
	v_pk_fma_f16 v187, v168, s14, v187 op_sel:[0,0,1] op_sel_hi:[1,0,0] neg_lo:[0,0,1] neg_hi:[0,0,1]
	v_sub_f16_e32 v134, v70, v77
	v_mul_f16_e32 v148, 0x2fb7, v160
	v_fma_f16 v133, v87, s9, -v144
	v_add_f16_e32 v184, v184, v189
	v_pk_add_f16 v186, v46, v186
	v_bfi_b32 v189, s2, v188, v187
	v_add_f16_e32 v82, v133, v82
	v_fma_f16 v133, v134, s17, v148
	v_sub_f16_e32 v156, v125, v130
	v_add_f16_e32 v180, v180, v185
	v_fma_f16 v185, v80, s14, -v196
	v_pk_add_f16 v186, v189, v186
	v_pk_mul_f16 v189, v171, s24 op_sel_hi:[1,0]
	v_add_f16_e32 v84, v133, v84
	v_add_f16_e32 v133, v76, v71
	;; [unrolled: 1-line block ×3, first 2 shown]
	v_mul_f16_e32 v146, 0xbb7b, v156
	v_add_f16_e32 v185, v185, v190
	v_fma_f16 v183, v192, s16, v183
	v_pk_fma_f16 v190, v170, s22, v189 op_sel:[0,0,1] op_sel_hi:[1,0,0]
	v_pk_fma_f16 v189, v170, s22, v189 op_sel:[0,0,1] op_sel_hi:[1,0,0] neg_lo:[0,0,1] neg_hi:[0,0,1]
	v_sub_f16_e32 v136, v71, v76
	v_mul_f16_e32 v151, 0xb5ac, v162
	v_fma_f16 v135, v133, s14, -v146
	v_add_f16_e32 v183, v183, v191
	v_bfi_b32 v191, s2, v190, v189
	v_add_f16_e32 v82, v135, v82
	v_fma_f16 v135, v136, s16, v151
	v_sub_f16_e32 v159, v126, v128
	v_pk_add_f16 v186, v191, v186
	v_pk_mul_f16 v191, v173, s18 op_sel_hi:[1,0]
	v_add_f16_e32 v84, v135, v84
	v_add_f16_e32 v135, v75, v72
	;; [unrolled: 1-line block ×3, first 2 shown]
	v_mul_f16_e32 v149, 0xb94e, v159
	v_pk_fma_f16 v193, v172, s15, v191 op_sel:[0,0,1] op_sel_hi:[1,0,0]
	v_pk_fma_f16 v191, v172, s15, v191 op_sel:[0,0,1] op_sel_hi:[1,0,0] neg_lo:[0,0,1] neg_hi:[0,0,1]
	v_sub_f16_e32 v138, v72, v75
	v_mul_f16_e32 v155, 0xb9fd, v163
	v_fma_f16 v137, v135, s15, -v149
	v_bfi_b32 v194, s2, v193, v191
	v_add_f16_e32 v82, v137, v82
	v_fma_f16 v137, v138, s21, v155
	v_sub_f16_e32 v161, v124, v127
	v_pk_add_f16 v186, v194, v186
	v_pk_mul_f16 v194, v175, s13 op_sel_hi:[1,0]
	v_add_f16_e32 v84, v137, v84
	v_add_f16_e32 v137, v74, v73
	;; [unrolled: 1-line block ×3, first 2 shown]
	v_mul_f16_e32 v152, 0xb3a8, v161
	v_pk_fma_f16 v195, v174, s9, v194 op_sel:[0,0,1] op_sel_hi:[1,0,0]
	v_pk_fma_f16 v194, v174, s9, v194 op_sel:[0,0,1] op_sel_hi:[1,0,0] neg_lo:[0,0,1] neg_hi:[0,0,1]
	v_sub_f16_e32 v139, v73, v74
	v_mul_f16_e32 v158, 0xbbc4, v164
	v_fma_f16 v197, v137, s22, -v152
	v_bfi_b32 v196, s2, v195, v194
	v_add_f16_e32 v82, v197, v82
	v_fma_f16 v197, v139, s24, v158
	v_pk_add_f16 v186, v196, v186
	v_pk_mul_f16 v196, v192, s12 op_sel_hi:[1,0]
	v_add_f16_e32 v84, v197, v84
	v_pk_fma_f16 v197, v80, s8, v196 op_sel:[0,0,1] op_sel_hi:[1,0,0]
	v_pk_fma_f16 v196, v80, s8, v196 op_sel:[0,0,1] op_sel_hi:[1,0,0] neg_lo:[0,0,1] neg_hi:[0,0,1]
	v_pack_b32_f16 v140, v140, v176
	v_bfi_b32 v198, s2, v197, v196
	v_pk_add_f16 v186, v198, v186
	ds_write2_b32 v103, v186, v140 offset0:2 offset1:3
	v_pack_b32_f16 v140, v182, v184
	v_pack_b32_f16 v176, v178, v180
	ds_write2_b32 v103, v176, v140 offset0:4 offset1:5
	v_pk_mul_f16 v140, v166, s22 op_sel_hi:[1,0]
	v_add_f16_e32 v78, v46, v78
	v_pk_fma_f16 v166, v167, s24, v140 op_sel:[0,0,1] op_sel_hi:[1,0,0]
	v_pk_fma_f16 v140, v167, s24, v140 op_sel:[0,0,1] op_sel_hi:[1,0,0] neg_lo:[1,0,0] neg_hi:[1,0,0]
	v_alignbit_b32 v176, s0, v166, 16
	v_add_f16_sdwa v79, v46, v79 dst_sel:DWORD dst_unused:UNUSED_PAD src0_sel:WORD_1 src1_sel:WORD_1
	v_pk_add_f16 v176, v46, v176
	v_pk_add_f16 v140, v46, v140 op_sel:[1,0] op_sel_hi:[0,1]
	v_alignbit_b32 v46, s0, v46, 16
	v_pk_add_f16 v46, v46, v166
	v_pk_mul_f16 v166, v168, s8 op_sel_hi:[1,0]
	v_pk_mul_f16 v80, v80, s9 op_sel_hi:[1,0]
	v_pk_fma_f16 v167, v169, s12, v166 op_sel:[0,0,1] op_sel_hi:[1,0,0]
	v_pk_fma_f16 v166, v169, s12, v166 op_sel:[0,0,1] op_sel_hi:[1,0,0] neg_lo:[1,0,0] neg_hi:[1,0,0]
	v_alignbit_b32 v168, s0, v167, 16
	v_pk_add_f16 v140, v166, v140
	v_pk_mul_f16 v166, v170, s15 op_sel_hi:[1,0]
	v_pk_add_f16 v46, v167, v46
	v_pk_fma_f16 v167, v171, s21, v166 op_sel:[0,0,1] op_sel_hi:[1,0,0]
	v_pk_fma_f16 v166, v171, s21, v166 op_sel:[0,0,1] op_sel_hi:[1,0,0] neg_lo:[1,0,0] neg_hi:[1,0,0]
	v_alignbit_b32 v169, s0, v167, 16
	v_pk_add_f16 v140, v166, v140
	v_pk_mul_f16 v166, v172, s19 op_sel_hi:[1,0]
	v_pk_add_f16 v46, v167, v46
	v_pk_fma_f16 v167, v173, s25, v166 op_sel:[0,0,1] op_sel_hi:[1,0,0]
	v_pk_fma_f16 v166, v173, s25, v166 op_sel:[0,0,1] op_sel_hi:[1,0,0] neg_lo:[1,0,0] neg_hi:[1,0,0]
	v_pk_add_f16 v168, v168, v176
	v_pk_add_f16 v140, v166, v140
	v_pk_mul_f16 v166, v174, s14 op_sel_hi:[1,0]
	v_pk_add_f16 v168, v169, v168
	v_alignbit_b32 v169, s0, v167, 16
	v_pk_add_f16 v46, v167, v46
	v_pk_fma_f16 v167, v175, s16, v166 op_sel:[0,0,1] op_sel_hi:[1,0,0]
	v_pk_fma_f16 v166, v175, s16, v166 op_sel:[0,0,1] op_sel_hi:[1,0,0] neg_lo:[1,0,0] neg_hi:[1,0,0]
	v_add_f16_e32 v78, v187, v78
	v_add_f16_sdwa v79, v188, v79 dst_sel:DWORD dst_unused:UNUSED_PAD src0_sel:WORD_1 src1_sel:DWORD
	v_pk_add_f16 v168, v169, v168
	v_alignbit_b32 v169, s0, v167, 16
	v_pk_add_f16 v140, v166, v140
	v_pk_fma_f16 v166, v192, s13, v80 op_sel:[0,0,1] op_sel_hi:[1,0,0]
	v_add_f16_e32 v78, v189, v78
	v_add_f16_sdwa v79, v190, v79 dst_sel:DWORD dst_unused:UNUSED_PAD src0_sel:WORD_1 src1_sel:DWORD
	v_pk_add_f16 v168, v169, v168
	v_pk_add_f16 v46, v167, v46
	v_alignbit_b32 v167, s0, v166, 16
	v_pk_fma_f16 v80, v192, s13, v80 op_sel:[0,0,1] op_sel_hi:[1,0,0] neg_lo:[1,0,0] neg_hi:[1,0,0]
	v_add_f16_e32 v78, v191, v78
	v_add_f16_sdwa v79, v193, v79 dst_sel:DWORD dst_unused:UNUSED_PAD src0_sel:WORD_1 src1_sel:DWORD
	v_pk_add_f16 v167, v167, v168
	v_pk_add_f16 v80, v80, v140
	v_pk_add_f16 v46, v166, v46
	v_add_f16_e32 v78, v194, v78
	v_add_f16_sdwa v79, v195, v79 dst_sel:DWORD dst_unused:UNUSED_PAD src0_sel:WORD_1 src1_sel:DWORD
	v_alignbit_b32 v46, v46, v80, 16
	v_pack_b32_f16 v80, v167, v80
	v_add_f16_e32 v78, v196, v78
	v_add_f16_sdwa v79, v197, v79 dst_sel:DWORD dst_unused:UNUSED_PAD src0_sel:WORD_1 src1_sel:DWORD
	ds_write2_b32 v103, v80, v46 offset0:6 offset1:7
	v_pack_b32_f16 v46, v181, v179
	v_pack_b32_f16 v80, v185, v183
	ds_write2_b32 v103, v80, v46 offset0:8 offset1:9
	v_pack_b32_f16 v46, v78, v79
	v_pack_b32_f16 v78, v177, v165
	ds_write2_b32 v103, v78, v46 offset0:10 offset1:11
	v_pack_b32_f16 v46, v83, v81
	ds_write_b32 v103, v46 offset:48
	s_and_saveexec_b64 s[2:3], vcc
	s_cbranch_execz .LBB0_17
; %bb.16:
	v_mul_f16_e32 v169, 0xbbc4, v154
	v_fma_f16 v170, v86, s26, v169
	v_mul_f16_e32 v171, 0x3b15, v157
	v_add_f16_e32 v170, v120, v170
	v_fma_f16 v172, v132, s27, v171
	v_add_f16_e32 v170, v172, v170
	v_mul_f16_e32 v172, 0xb9fd, v160
	v_fma_f16 v173, v134, s18, v172
	v_add_f16_e32 v170, v173, v170
	v_mul_f16_e32 v173, 0x388b, v162
	;; [unrolled: 3-line block ×5, first 2 shown]
	v_fma_f16 v177, v47, s22, v176
	v_mul_f16_e32 v178, 0x3770, v150
	v_add_f16_e32 v177, v119, v177
	v_fma_f16 v179, v85, s8, v178
	v_add_f16_e32 v177, v179, v177
	v_mul_f16_e32 v179, 0xb94e, v153
	v_fma_f16 v180, v87, s15, v179
	v_add_f16_e32 v177, v180, v177
	v_mul_f16_e32 v180, 0x3a95, v156
	;; [unrolled: 3-line block ×5, first 2 shown]
	v_fma_f16 v184, v86, s18, v183
	v_mul_f16_e32 v185, 0x2fb7, v157
	v_add_f16_e32 v184, v120, v184
	v_fma_f16 v186, v132, s17, v185
	v_add_f16_e32 v184, v186, v184
	v_mul_f16_e32 v186, 0x388b, v160
	v_fma_f16 v187, v134, s25, v186
	v_add_f16_e32 v184, v187, v184
	v_mul_f16_e32 v187, 0xbbc4, v162
	;; [unrolled: 3-line block ×4, first 2 shown]
	v_add_f16_e32 v68, v68, v119
	v_fma_f16 v190, v139, s20, v189
	v_add_f16_e32 v68, v69, v68
	v_add_f16_e32 v184, v190, v184
	v_mul_f16_e32 v190, 0xb94e, v147
	v_add_f16_e32 v68, v70, v68
	v_fma_f16 v191, v47, s15, v190
	v_mul_f16_e32 v192, 0x3bf1, v150
	v_add_f16_e32 v68, v71, v68
	v_add_f16_e32 v191, v119, v191
	v_fma_f16 v193, v85, s9, v192
	v_add_f16_e32 v68, v72, v68
	v_add_f16_e32 v191, v193, v191
	v_mul_f16_e32 v193, 0xba95, v153
	v_add_f16_e32 v68, v73, v68
	v_fma_f16 v194, v87, s19, v193
	v_add_f16_e32 v68, v74, v68
	v_add_f16_e32 v191, v194, v191
	v_mul_f16_e32 v194, 0x33a8, v156
	;; [unrolled: 5-line block ×3, first 2 shown]
	v_add_f16_e32 v68, v77, v68
	v_fma_f16 v196, v135, s8, v195
	v_add_f16_e32 v66, v66, v68
	v_fma_f16 v68, v86, s24, v169
	v_add_f16_e32 v191, v196, v191
	v_mul_f16_e32 v196, 0xbb7b, v161
	v_add_f16_e32 v68, v120, v68
	v_fma_f16 v69, v132, s12, v171
	v_fma_f16 v197, v137, s14, v196
	v_add_f16_e32 v68, v69, v68
	v_fma_f16 v69, v134, s21, v172
	v_add_f16_e32 v191, v197, v191
	v_mul_f16_e32 v197, 0xb5ac, v154
	v_add_f16_e32 v68, v69, v68
	v_fma_f16 v69, v136, s25, v173
	v_fma_f16 v198, v86, s20, v197
	v_mul_f16_e32 v199, 0xb9fd, v157
	v_add_f16_e32 v68, v69, v68
	v_fma_f16 v69, v138, s16, v174
	v_add_f16_e32 v198, v120, v198
	v_fma_f16 v200, v132, s21, v199
	v_add_f16_e32 v68, v69, v68
	v_fma_f16 v69, v139, s13, v175
	v_add_f16_e32 v198, v200, v198
	v_mul_f16_e32 v200, 0x3b15, v160
	v_add_f16_e32 v68, v69, v68
	v_fma_f16 v69, v47, s22, -v176
	v_fma_f16 v201, v134, s27, v200
	v_add_f16_e32 v69, v119, v69
	v_fma_f16 v70, v85, s8, -v178
	v_add_f16_e32 v198, v201, v198
	v_mul_f16_e32 v201, 0x2fb7, v162
	v_add_f16_e32 v69, v70, v69
	v_fma_f16 v70, v87, s15, -v179
	v_fma_f16 v202, v136, s13, v201
	v_add_f16_e32 v69, v70, v69
	v_fma_f16 v70, v133, s19, -v180
	;; [unrolled: 7-line block ×3, first 2 shown]
	v_add_f16_e32 v198, v203, v198
	v_mul_f16_e32 v203, 0x388b, v164
	v_add_f16_e32 v69, v70, v69
	v_fma_f16 v70, v86, s21, v183
	v_fma_f16 v204, v139, s23, v203
	v_add_f16_e32 v70, v120, v70
	v_fma_f16 v71, v132, s13, v185
	v_add_f16_e32 v198, v204, v198
	v_mul_f16_e32 v204, 0xbb7b, v147
	v_add_f16_e32 v70, v71, v70
	v_fma_f16 v71, v134, s23, v186
	v_fma_f16 v205, v47, s14, v204
	v_mul_f16_e32 v206, 0x394e, v150
	v_add_f16_e32 v70, v71, v70
	v_fma_f16 v71, v136, s26, v187
	v_add_f16_e32 v205, v119, v205
	v_fma_f16 v207, v85, s15, v206
	;; [unrolled: 2-line block ×3, first 2 shown]
	v_add_f16_e32 v205, v207, v205
	v_mul_f16_e32 v207, 0x3770, v153
	v_add_f16_e32 v70, v71, v70
	v_fma_f16 v71, v139, s16, v189
	v_fma_f16 v208, v87, s8, v207
	v_add_f16_e32 v70, v71, v70
	v_fma_f16 v71, v47, s15, -v190
	v_add_f16_e32 v205, v208, v205
	v_mul_f16_e32 v208, 0xbbf1, v156
	v_add_f16_e32 v71, v119, v71
	v_fma_f16 v72, v85, s9, -v192
	v_fma_f16 v209, v133, s9, v208
	v_add_f16_e32 v71, v72, v71
	v_fma_f16 v72, v87, s19, -v193
	v_add_f16_e32 v205, v209, v205
	v_mul_f16_e32 v209, 0x33a8, v159
	v_add_f16_e32 v71, v72, v71
	v_fma_f16 v72, v133, s22, -v194
	;; [unrolled: 7-line block ×3, first 2 shown]
	v_fma_f16 v211, v137, s19, v210
	v_add_f16_e32 v71, v72, v71
	v_fma_f16 v72, v86, s16, v197
	v_add_f16_e32 v205, v211, v205
	v_mul_f16_e32 v211, 0x2fb7, v154
	v_add_f16_e32 v72, v120, v72
	v_fma_f16 v73, v132, s18, v199
	v_fma_f16 v212, v86, s13, v211
	v_mul_f16_e32 v213, 0xbbc4, v157
	v_add_f16_e32 v72, v73, v72
	v_fma_f16 v73, v134, s12, v200
	v_add_f16_e32 v212, v120, v212
	v_fma_f16 v214, v132, s26, v213
	;; [unrolled: 2-line block ×3, first 2 shown]
	v_add_f16_e32 v212, v214, v212
	v_mul_f16_e32 v214, 0xb5ac, v160
	v_add_f16_e32 v72, v73, v72
	v_fma_f16 v73, v138, s26, v202
	v_fma_f16 v215, v134, s16, v214
	v_add_f16_e32 v72, v73, v72
	v_fma_f16 v73, v139, s25, v203
	v_add_f16_e32 v212, v215, v212
	v_mul_f16_e32 v215, 0x3b15, v162
	v_add_f16_e32 v72, v73, v72
	v_fma_f16 v73, v47, s14, -v204
	v_fma_f16 v216, v136, s27, v215
	v_add_f16_e32 v73, v119, v73
	v_fma_f16 v74, v85, s15, -v206
	v_add_f16_e32 v212, v216, v212
	v_mul_f16_e32 v216, 0x388b, v163
	v_add_f16_e32 v73, v74, v73
	v_fma_f16 v74, v87, s8, -v207
	v_fma_f16 v217, v138, s25, v216
	v_add_f16_e32 v73, v74, v73
	v_fma_f16 v74, v133, s9, -v208
	v_add_f16_e32 v212, v217, v212
	v_mul_f16_e32 v217, 0xb9fd, v164
	v_add_f16_e32 v73, v74, v73
	v_fma_f16 v74, v135, s22, -v209
	v_fma_f16 v218, v139, s18, v217
	v_add_f16_e32 v73, v74, v73
	v_fma_f16 v74, v137, s19, -v210
	v_add_f16_e32 v212, v218, v212
	v_mul_f16_e32 v218, 0xbbf1, v147
	v_add_f16_e32 v73, v74, v73
	v_fma_f16 v74, v86, s17, v211
	v_fma_f16 v219, v47, s9, v218
	v_mul_f16_e32 v220, 0xb3a8, v150
	v_add_f16_e32 v74, v120, v74
	v_fma_f16 v75, v132, s24, v213
	v_add_f16_e32 v219, v119, v219
	v_fma_f16 v221, v85, s22, v220
	;; [unrolled: 2-line block ×3, first 2 shown]
	v_add_f16_e32 v219, v221, v219
	v_mul_f16_e32 v221, 0x3b7b, v153
	v_add_f16_e32 v74, v75, v74
	v_fma_f16 v75, v136, s12, v215
	v_fma_f16 v222, v87, s14, v221
	v_add_f16_e32 v74, v75, v74
	v_fma_f16 v75, v138, s23, v216
	v_add_f16_e32 v219, v222, v219
	v_mul_f16_e32 v222, 0x3770, v156
	v_add_f16_e32 v74, v75, v74
	v_fma_f16 v75, v139, s21, v217
	v_fma_f16 v223, v133, s8, v222
	v_add_f16_e32 v74, v75, v74
	v_fma_f16 v75, v47, s9, -v218
	v_add_f16_e32 v219, v223, v219
	v_mul_f16_e32 v223, 0xba95, v159
	v_add_f16_e32 v75, v119, v75
	v_fma_f16 v76, v85, s22, -v220
	v_fma_f16 v224, v135, s19, v223
	v_add_f16_e32 v75, v76, v75
	v_fma_f16 v76, v87, s14, -v221
	v_add_f16_e32 v219, v224, v219
	v_mul_f16_e32 v224, 0xb94e, v161
	v_add_f16_e32 v75, v76, v75
	v_fma_f16 v76, v133, s8, -v222
	v_fma_f16 v225, v137, s15, v224
	v_mul_f16_e32 v154, 0x388b, v154
	v_add_f16_e32 v75, v76, v75
	v_fma_f16 v76, v135, s19, -v223
	v_add_f16_e32 v219, v225, v219
	v_fma_f16 v225, v86, s25, v154
	v_mul_f16_e32 v157, 0xb5ac, v157
	v_add_f16_e32 v66, v67, v66
	v_add_f16_e32 v67, v121, v120
	;; [unrolled: 1-line block ×3, first 2 shown]
	v_fma_f16 v76, v137, s15, -v224
	v_add_f16_e32 v225, v120, v225
	v_fma_f16 v226, v132, s20, v157
	v_mul_f16_e32 v160, 0xbbc4, v160
	v_add_f16_e32 v67, v122, v67
	v_add_f16_e32 v75, v76, v75
	v_fma_f16 v76, v86, s23, v154
	v_add_f16_e32 v225, v226, v225
	v_fma_f16 v226, v134, s26, v160
	v_mul_f16_e32 v162, 0xb9fd, v162
	v_add_f16_e32 v67, v123, v67
	v_add_f16_e32 v76, v120, v76
	v_fma_f16 v77, v132, s16, v157
	;; [unrolled: 6-line block ×3, first 2 shown]
	v_mul_f16_e32 v46, 0x3b15, v47
	v_mul_f16_e32 v78, 0xb770, v86
	v_add_f16_e32 v225, v226, v225
	v_fma_f16 v226, v138, s17, v163
	v_mul_f16_e32 v164, 0x3b15, v164
	v_add_f16_e32 v67, v126, v67
	v_add_f16_e32 v76, v77, v76
	v_fma_f16 v77, v136, s18, v162
	v_mul_f16_e32 v79, 0x388b, v85
	v_mul_f16_e32 v80, 0xba95, v132
	v_add_f16_e32 v225, v226, v225
	v_fma_f16 v226, v139, s27, v164
	v_mul_f16_e32 v147, 0xba95, v147
	v_sub_f16_e32 v78, v143, v78
	v_add_f16_e32 v46, v46, v141
	v_add_f16_e32 v67, v124, v67
	v_add_f16_e32 v76, v77, v76
	v_fma_f16 v77, v138, s13, v163
	v_mul_f16_e32 v81, 0x2fb7, v87
	v_mul_f16_e32 v83, 0xbbf1, v134
	v_add_f16_e32 v225, v226, v225
	v_fma_f16 v226, v47, s19, v147
	v_mul_f16_e32 v150, 0xbb7b, v150
	v_add_f16_e32 v78, v120, v78
	v_sub_f16_e32 v80, v145, v80
	v_add_f16_e32 v46, v119, v46
	v_add_f16_e32 v79, v79, v142
	;; [unrolled: 1-line block ×4, first 2 shown]
	v_fma_f16 v77, v139, s12, v164
	v_fma_f16 v47, v47, s19, -v147
	v_mul_f16_e32 v103, 0xb5ac, v133
	v_mul_f16_e32 v140, 0xbb7b, v136
	v_add_f16_e32 v226, v119, v226
	v_fma_f16 v227, v85, s14, v150
	v_mul_f16_e32 v153, 0xb3a8, v153
	v_add_f16_e32 v78, v80, v78
	v_sub_f16_e32 v80, v148, v83
	v_add_f16_e32 v46, v79, v46
	v_add_f16_e32 v79, v81, v144
	;; [unrolled: 1-line block ×5, first 2 shown]
	v_fma_f16 v77, v85, s14, -v150
	v_mul_f16_e32 v165, 0xb9fd, v135
	v_mul_f16_e32 v166, 0xb94e, v138
	v_add_f16_e32 v226, v227, v226
	v_fma_f16 v227, v87, s22, v153
	v_mul_f16_e32 v156, 0x394e, v156
	v_add_f16_e32 v78, v80, v78
	v_sub_f16_e32 v80, v151, v140
	v_add_f16_e32 v46, v79, v46
	v_add_f16_e32 v79, v103, v146
	;; [unrolled: 1-line block ×4, first 2 shown]
	v_fma_f16 v77, v87, s22, -v153
	v_mul_f16_e32 v167, 0xbbc4, v137
	v_mul_f16_e32 v168, 0xb3a8, v139
	v_add_f16_e32 v226, v227, v226
	v_fma_f16 v227, v133, s15, v156
	v_mul_f16_e32 v159, 0x3bf1, v159
	v_add_f16_e32 v78, v80, v78
	v_sub_f16_e32 v80, v155, v166
	v_add_f16_e32 v46, v79, v46
	v_add_f16_e32 v79, v165, v149
	;; [unrolled: 1-line block ×4, first 2 shown]
	v_fma_f16 v77, v133, s15, -v156
	v_add_f16_e32 v226, v227, v226
	v_fma_f16 v227, v135, s9, v159
	v_mul_f16_e32 v161, 0x3770, v161
	v_add_f16_e32 v78, v80, v78
	v_sub_f16_e32 v80, v158, v168
	v_add_f16_e32 v46, v79, v46
	v_add_f16_e32 v79, v167, v152
	;; [unrolled: 1-line block ×4, first 2 shown]
	v_fma_f16 v77, v135, s9, -v159
	v_add_f16_e32 v226, v227, v226
	v_fma_f16 v227, v137, s8, v161
	v_add_f16_e32 v78, v80, v78
	v_add_f16_e32 v46, v79, v46
	v_add_f16_e32 v67, v118, v67
	v_add_f16_e32 v47, v77, v47
	v_fma_f16 v77, v137, s8, -v161
	v_add_f16_e32 v226, v227, v226
	v_add_f16_e32 v47, v77, v47
	v_lshl_add_u32 v77, v102, 2, v101
	v_pack_b32_f16 v46, v46, v78
	v_pack_b32_f16 v66, v66, v67
	ds_write2_b32 v77, v66, v46 offset1:1
	v_pack_b32_f16 v46, v219, v212
	v_pack_b32_f16 v66, v226, v225
	ds_write2_b32 v77, v66, v46 offset0:2 offset1:3
	v_pack_b32_f16 v46, v191, v184
	v_pack_b32_f16 v66, v205, v198
	ds_write2_b32 v77, v66, v46 offset0:4 offset1:5
	;; [unrolled: 3-line block ×4, first 2 shown]
	v_pack_b32_f16 v46, v47, v76
	v_pack_b32_f16 v47, v75, v74
	s_mov_b32 s8, 0x5040100
	ds_write2_b32 v77, v47, v46 offset0:10 offset1:11
	v_perm_b32 v46, v84, v82, s8
	ds_write_b32 v77, v46 offset:48
.LBB0_17:
	s_or_b64 exec, exec, s[2:3]
	s_waitcnt lgkmcnt(0)
	s_barrier
	ds_read2_b32 v[68:69], v45 offset1:39
	ds_read2_b32 v[46:47], v45 offset0:156 offset1:195
	v_add_u32_e32 v85, 0x400, v45
	ds_read2_b32 v[72:73], v85 offset0:134 offset1:173
	v_add_u32_e32 v101, 0x800, v45
	ds_read2_b32 v[74:75], v101 offset0:34 offset1:73
	s_waitcnt lgkmcnt(2)
	v_lshrrev_b32_e32 v83, 16, v47
	v_add_u32_e32 v122, 0xc00, v45
	ds_read2_b32 v[76:77], v122 offset0:12 offset1:51
	v_mul_f16_sdwa v147, v0, v83 dst_sel:DWORD dst_unused:UNUSED_PAD src0_sel:WORD_1 src1_sel:DWORD
	s_waitcnt lgkmcnt(2)
	v_lshrrev_b32_e32 v123, 16, v72
	v_add_u32_e32 v71, 0x200, v45
	v_fma_f16 v147, v0, v47, v147
	v_mul_f16_sdwa v47, v0, v47 dst_sel:DWORD dst_unused:UNUSED_PAD src0_sel:WORD_1 src1_sel:DWORD
	ds_read2_b32 v[78:79], v71 offset0:106 offset1:145
	v_fma_f16 v0, v0, v83, -v47
	v_mul_f16_sdwa v47, v1, v123 dst_sel:DWORD dst_unused:UNUSED_PAD src0_sel:WORD_1 src1_sel:DWORD
	s_waitcnt lgkmcnt(2)
	v_lshrrev_b32_e32 v124, 16, v75
	v_fma_f16 v47, v1, v72, v47
	v_mul_f16_sdwa v72, v1, v72 dst_sel:DWORD dst_unused:UNUSED_PAD src0_sel:WORD_1 src1_sel:DWORD
	v_fma_f16 v1, v1, v123, -v72
	v_mul_f16_sdwa v72, v2, v124 dst_sel:DWORD dst_unused:UNUSED_PAD src0_sel:WORD_1 src1_sel:DWORD
	s_waitcnt lgkmcnt(1)
	v_lshrrev_b32_e32 v125, 16, v76
	v_fma_f16 v72, v2, v75, v72
	v_mul_f16_sdwa v75, v2, v75 dst_sel:DWORD dst_unused:UNUSED_PAD src0_sel:WORD_1 src1_sel:DWORD
	ds_read2_b32 v[80:81], v101 offset0:112 offset1:151
	v_fma_f16 v2, v2, v124, -v75
	v_mul_f16_sdwa v75, v3, v125 dst_sel:DWORD dst_unused:UNUSED_PAD src0_sel:WORD_1 src1_sel:DWORD
	s_waitcnt lgkmcnt(1)
	v_lshrrev_b32_e32 v127, 16, v78
	v_fma_f16 v75, v3, v76, v75
	v_mul_f16_sdwa v76, v3, v76 dst_sel:DWORD dst_unused:UNUSED_PAD src0_sel:WORD_1 src1_sel:DWORD
	v_fma_f16 v3, v3, v125, -v76
	v_mul_f16_sdwa v76, v4, v127 dst_sel:DWORD dst_unused:UNUSED_PAD src0_sel:WORD_1 src1_sel:DWORD
	v_lshrrev_b32_e32 v128, 16, v73
	v_fma_f16 v76, v4, v78, v76
	v_mul_f16_sdwa v78, v4, v78 dst_sel:DWORD dst_unused:UNUSED_PAD src0_sel:WORD_1 src1_sel:DWORD
	v_fma_f16 v4, v4, v127, -v78
	v_mul_f16_sdwa v78, v5, v128 dst_sel:DWORD dst_unused:UNUSED_PAD src0_sel:WORD_1 src1_sel:DWORD
	s_waitcnt lgkmcnt(0)
	v_lshrrev_b32_e32 v129, 16, v80
	v_fma_f16 v78, v5, v73, v78
	v_mul_f16_sdwa v73, v5, v73 dst_sel:DWORD dst_unused:UNUSED_PAD src0_sel:WORD_1 src1_sel:DWORD
	ds_read2_b32 v[86:87], v85 offset0:212 offset1:251
	v_fma_f16 v5, v5, v128, -v73
	v_mul_f16_sdwa v73, v6, v129 dst_sel:DWORD dst_unused:UNUSED_PAD src0_sel:WORD_1 src1_sel:DWORD
	v_lshrrev_b32_e32 v130, 16, v77
	v_fma_f16 v73, v6, v80, v73
	v_mul_f16_sdwa v80, v6, v80 dst_sel:DWORD dst_unused:UNUSED_PAD src0_sel:WORD_1 src1_sel:DWORD
	v_fma_f16 v6, v6, v129, -v80
	v_mul_f16_sdwa v80, v7, v130 dst_sel:DWORD dst_unused:UNUSED_PAD src0_sel:WORD_1 src1_sel:DWORD
	v_lshrrev_b32_e32 v132, 16, v79
	ds_read2_b32 v[102:103], v122 offset0:90 offset1:129
	v_fma_f16 v80, v7, v77, v80
	v_mul_f16_sdwa v77, v7, v77 dst_sel:DWORD dst_unused:UNUSED_PAD src0_sel:WORD_1 src1_sel:DWORD
	ds_read2_b32 v[118:119], v85 offset0:56 offset1:95
	v_fma_f16 v7, v7, v130, -v77
	v_mul_f16_sdwa v77, v8, v132 dst_sel:DWORD dst_unused:UNUSED_PAD src0_sel:WORD_1 src1_sel:DWORD
	s_waitcnt lgkmcnt(2)
	v_lshrrev_b32_e32 v133, 16, v86
	v_fma_f16 v77, v8, v79, v77
	v_mul_f16_sdwa v79, v8, v79 dst_sel:DWORD dst_unused:UNUSED_PAD src0_sel:WORD_1 src1_sel:DWORD
	v_lshrrev_b32_e32 v134, 16, v81
	v_fma_f16 v8, v8, v132, -v79
	v_mul_f16_sdwa v79, v9, v133 dst_sel:DWORD dst_unused:UNUSED_PAD src0_sel:WORD_1 src1_sel:DWORD
	v_mul_f16_sdwa v83, v9, v86 dst_sel:DWORD dst_unused:UNUSED_PAD src0_sel:WORD_1 src1_sel:DWORD
	ds_read2_b32 v[120:121], v101 offset0:190 offset1:229
	v_fma_f16 v79, v9, v86, v79
	v_fma_f16 v9, v9, v133, -v83
	v_mul_f16_sdwa v83, v10, v134 dst_sel:DWORD dst_unused:UNUSED_PAD src0_sel:WORD_1 src1_sel:DWORD
	s_waitcnt lgkmcnt(2)
	v_lshrrev_b32_e32 v135, 16, v102
	v_fma_f16 v83, v10, v81, v83
	v_mul_f16_sdwa v81, v10, v81 dst_sel:DWORD dst_unused:UNUSED_PAD src0_sel:WORD_1 src1_sel:DWORD
	s_waitcnt lgkmcnt(1)
	v_lshrrev_b32_e32 v137, 16, v118
	v_fma_f16 v10, v10, v134, -v81
	v_mul_f16_sdwa v81, v11, v135 dst_sel:DWORD dst_unused:UNUSED_PAD src0_sel:WORD_1 src1_sel:DWORD
	v_mul_f16_sdwa v86, v11, v102 dst_sel:DWORD dst_unused:UNUSED_PAD src0_sel:WORD_1 src1_sel:DWORD
	v_lshrrev_b32_e32 v138, 16, v87
	v_fma_f16 v81, v11, v102, v81
	v_fma_f16 v11, v11, v135, -v86
	v_mul_f16_sdwa v86, v12, v137 dst_sel:DWORD dst_unused:UNUSED_PAD src0_sel:WORD_1 src1_sel:DWORD
	v_mul_f16_sdwa v102, v12, v118 dst_sel:DWORD dst_unused:UNUSED_PAD src0_sel:WORD_1 src1_sel:DWORD
	v_fma_f16 v86, v12, v118, v86
	v_fma_f16 v12, v12, v137, -v102
	v_mul_f16_sdwa v102, v13, v138 dst_sel:DWORD dst_unused:UNUSED_PAD src0_sel:WORD_1 src1_sel:DWORD
	s_waitcnt lgkmcnt(0)
	v_lshrrev_b32_e32 v139, 16, v120
	v_fma_f16 v102, v13, v87, v102
	v_mul_f16_sdwa v87, v13, v87 dst_sel:DWORD dst_unused:UNUSED_PAD src0_sel:WORD_1 src1_sel:DWORD
	v_lshrrev_b32_e32 v140, 16, v103
	v_fma_f16 v13, v13, v138, -v87
	v_mul_f16_sdwa v87, v14, v139 dst_sel:DWORD dst_unused:UNUSED_PAD src0_sel:WORD_1 src1_sel:DWORD
	v_mul_f16_sdwa v118, v14, v120 dst_sel:DWORD dst_unused:UNUSED_PAD src0_sel:WORD_1 src1_sel:DWORD
	v_fma_f16 v87, v14, v120, v87
	v_fma_f16 v14, v14, v139, -v118
	v_mul_f16_sdwa v118, v15, v140 dst_sel:DWORD dst_unused:UNUSED_PAD src0_sel:WORD_1 src1_sel:DWORD
	ds_read_b32 v141, v45 offset:3744
	v_lshrrev_b32_e32 v143, 16, v119
	v_fma_f16 v118, v15, v103, v118
	v_mul_f16_sdwa v103, v15, v103 dst_sel:DWORD dst_unused:UNUSED_PAD src0_sel:WORD_1 src1_sel:DWORD
	v_fma_f16 v15, v15, v140, -v103
	v_mul_f16_sdwa v103, v16, v143 dst_sel:DWORD dst_unused:UNUSED_PAD src0_sel:WORD_1 src1_sel:DWORD
	v_lshrrev_b32_e32 v144, 16, v74
	v_fma_f16 v103, v16, v119, v103
	v_mul_f16_sdwa v119, v16, v119 dst_sel:DWORD dst_unused:UNUSED_PAD src0_sel:WORD_1 src1_sel:DWORD
	v_fma_f16 v16, v16, v143, -v119
	v_mul_f16_sdwa v119, v17, v144 dst_sel:DWORD dst_unused:UNUSED_PAD src0_sel:WORD_1 src1_sel:DWORD
	v_add_f16_e32 v123, v47, v72
	v_lshrrev_b32_e32 v145, 16, v121
	v_fma_f16 v119, v17, v74, v119
	v_mul_f16_sdwa v74, v17, v74 dst_sel:DWORD dst_unused:UNUSED_PAD src0_sel:WORD_1 src1_sel:DWORD
	v_fma_f16 v123, v123, -0.5, v68
	v_sub_f16_e32 v124, v0, v3
	s_mov_b32 s3, 0xbb9c
	s_movk_i32 s9, 0x3b9c
	s_waitcnt lgkmcnt(0)
	v_lshrrev_b32_e32 v146, 16, v141
	v_fma_f16 v17, v17, v144, -v74
	v_mul_f16_sdwa v74, v18, v145 dst_sel:DWORD dst_unused:UNUSED_PAD src0_sel:WORD_1 src1_sel:DWORD
	v_mul_f16_sdwa v120, v18, v121 dst_sel:DWORD dst_unused:UNUSED_PAD src0_sel:WORD_1 src1_sel:DWORD
	v_fma_f16 v125, v124, s3, v123
	v_sub_f16_e32 v127, v1, v2
	s_mov_b32 s2, 0xb8b4
	v_sub_f16_e32 v128, v147, v47
	v_sub_f16_e32 v129, v75, v72
	v_fma_f16 v123, v124, s9, v123
	s_movk_i32 s12, 0x38b4
	v_fma_f16 v74, v18, v121, v74
	v_fma_f16 v18, v18, v145, -v120
	v_mul_f16_sdwa v120, v19, v146 dst_sel:DWORD dst_unused:UNUSED_PAD src0_sel:WORD_1 src1_sel:DWORD
	v_mul_f16_sdwa v121, v19, v141 dst_sel:DWORD dst_unused:UNUSED_PAD src0_sel:WORD_1 src1_sel:DWORD
	v_fma_f16 v125, v127, s2, v125
	v_add_f16_e32 v128, v128, v129
	s_movk_i32 s8, 0x34f2
	v_fma_f16 v123, v127, s12, v123
	v_fma_f16 v120, v19, v141, v120
	v_fma_f16 v19, v19, v146, -v121
	v_add_f16_e32 v121, v68, v147
	v_fma_f16 v125, v128, s8, v125
	v_fma_f16 v123, v128, s8, v123
	v_add_f16_e32 v128, v147, v75
	v_lshrrev_b32_e32 v70, 16, v68
	v_add_f16_e32 v121, v121, v47
	v_fma_f16 v68, v128, -0.5, v68
	v_add_f16_e32 v121, v121, v72
	v_fma_f16 v128, v127, s9, v68
	v_sub_f16_e32 v129, v47, v147
	v_sub_f16_e32 v130, v72, v75
	v_fma_f16 v68, v127, s3, v68
	v_add_f16_e32 v127, v1, v2
	v_add_f16_e32 v121, v121, v75
	v_fma_f16 v128, v124, s2, v128
	v_add_f16_e32 v129, v129, v130
	v_fma_f16 v68, v124, s12, v68
	v_fma_f16 v127, v127, -0.5, v70
	v_sub_f16_e32 v75, v147, v75
	v_fma_f16 v128, v129, s8, v128
	v_fma_f16 v68, v129, s8, v68
	;; [unrolled: 1-line block ×3, first 2 shown]
	v_sub_f16_e32 v47, v47, v72
	v_fma_f16 v72, v47, s12, v129
	v_sub_f16_e32 v129, v0, v1
	v_sub_f16_e32 v130, v3, v2
	v_add_f16_e32 v129, v129, v130
	v_fma_f16 v130, v129, s8, v72
	v_fma_f16 v72, v75, s3, v127
	v_add_f16_e32 v124, v70, v0
	v_fma_f16 v72, v47, s2, v72
	v_add_f16_e32 v124, v124, v1
	;; [unrolled: 2-line block ×3, first 2 shown]
	v_add_f16_e32 v124, v124, v2
	v_fma_f16 v70, v72, -0.5, v70
	v_add_f16_e32 v124, v124, v3
	v_fma_f16 v72, v47, s3, v70
	v_sub_f16_e32 v0, v1, v0
	v_sub_f16_e32 v1, v2, v3
	v_add_f16_e32 v3, v78, v73
	v_fma_f16 v72, v75, s12, v72
	v_add_f16_e32 v0, v0, v1
	v_fma_f16 v2, v47, s9, v70
	v_fma_f16 v3, v3, -0.5, v69
	v_sub_f16_e32 v47, v4, v7
	v_fma_f16 v1, v0, s8, v72
	v_fma_f16 v2, v75, s2, v2
	;; [unrolled: 1-line block ×3, first 2 shown]
	v_sub_f16_e32 v72, v5, v6
	v_sub_f16_e32 v75, v76, v78
	;; [unrolled: 1-line block ×3, first 2 shown]
	v_fma_f16 v3, v47, s9, v3
	v_fma_f16 v70, v72, s2, v70
	v_add_f16_e32 v75, v75, v129
	v_fma_f16 v3, v72, s12, v3
	v_fma_f16 v70, v75, s8, v70
	v_fma_f16 v3, v75, s8, v3
	v_add_f16_e32 v75, v76, v80
	v_lshrrev_b32_e32 v126, 16, v69
	v_fma_f16 v0, v0, s8, v2
	v_add_f16_e32 v2, v69, v76
	v_fma_f16 v69, v75, -0.5, v69
	v_add_f16_e32 v2, v2, v78
	v_fma_f16 v75, v72, s9, v69
	v_fma_f16 v69, v72, s3, v69
	v_add_f16_e32 v72, v5, v6
	v_add_f16_e32 v2, v2, v73
	v_sub_f16_e32 v129, v78, v76
	v_sub_f16_e32 v132, v73, v80
	v_fma_f16 v72, v72, -0.5, v126
	v_sub_f16_e32 v76, v76, v80
	v_add_f16_e32 v2, v2, v80
	v_fma_f16 v75, v47, s2, v75
	v_add_f16_e32 v129, v129, v132
	v_fma_f16 v47, v47, s12, v69
	v_fma_f16 v80, v76, s9, v72
	v_sub_f16_e32 v73, v78, v73
	ds_read2_b32 v[66:67], v45 offset0:78 offset1:117
	v_fma_f16 v75, v129, s8, v75
	v_fma_f16 v47, v129, s8, v47
	;; [unrolled: 1-line block ×3, first 2 shown]
	v_sub_f16_e32 v80, v4, v5
	v_sub_f16_e32 v129, v7, v6
	v_fma_f16 v72, v76, s3, v72
	v_add_f16_e32 v69, v126, v4
	v_add_f16_e32 v80, v80, v129
	v_fma_f16 v72, v73, s2, v72
	v_add_f16_e32 v69, v69, v5
	v_fma_f16 v78, v80, s8, v78
	v_fma_f16 v80, v80, s8, v72
	v_add_f16_e32 v72, v4, v7
	v_add_f16_e32 v69, v69, v6
	v_fma_f16 v72, v72, -0.5, v126
	v_add_f16_e32 v69, v69, v7
	v_fma_f16 v126, v73, s3, v72
	v_sub_f16_e32 v4, v5, v4
	v_sub_f16_e32 v5, v6, v7
	v_add_f16_e32 v7, v79, v83
	v_fma_f16 v126, v76, s12, v126
	v_add_f16_e32 v4, v4, v5
	v_fma_f16 v6, v73, s9, v72
	s_waitcnt lgkmcnt(0)
	v_fma_f16 v7, v7, -0.5, v66
	v_sub_f16_e32 v72, v8, v11
	v_fma_f16 v5, v4, s8, v126
	v_fma_f16 v6, v76, s2, v6
	;; [unrolled: 1-line block ×3, first 2 shown]
	v_sub_f16_e32 v76, v9, v10
	v_sub_f16_e32 v126, v77, v79
	;; [unrolled: 1-line block ×3, first 2 shown]
	v_fma_f16 v73, v76, s2, v73
	v_add_f16_e32 v126, v126, v129
	v_fma_f16 v129, v126, s8, v73
	v_add_f16_e32 v73, v77, v81
	v_lshrrev_b32_e32 v131, 16, v66
	v_fma_f16 v4, v4, s8, v6
	v_add_f16_e32 v6, v66, v77
	v_fma_f16 v66, v73, -0.5, v66
	v_fma_f16 v73, v76, s9, v66
	v_fma_f16 v66, v76, s3, v66
	v_fma_f16 v7, v72, s9, v7
	v_fma_f16 v73, v72, s2, v73
	v_fma_f16 v66, v72, s12, v66
	v_add_f16_e32 v72, v131, v8
	v_fma_f16 v7, v76, s12, v7
	v_add_f16_e32 v72, v72, v9
	v_fma_f16 v7, v126, s8, v7
	v_sub_f16_e32 v126, v79, v77
	v_sub_f16_e32 v132, v83, v81
	v_add_f16_e32 v72, v72, v10
	v_add_f16_e32 v6, v6, v79
	;; [unrolled: 1-line block ×6, first 2 shown]
	v_fma_f16 v132, v126, s8, v73
	v_fma_f16 v72, v72, -0.5, v131
	v_sub_f16_e32 v73, v77, v81
	v_add_f16_e32 v6, v6, v81
	v_fma_f16 v77, v73, s9, v72
	v_sub_f16_e32 v79, v79, v83
	v_sub_f16_e32 v81, v8, v9
	v_sub_f16_e32 v83, v11, v10
	v_fma_f16 v72, v73, s3, v72
	v_fma_f16 v77, v79, s12, v77
	v_add_f16_e32 v81, v81, v83
	v_fma_f16 v72, v79, s2, v72
	v_fma_f16 v77, v81, s8, v77
	;; [unrolled: 1-line block ×3, first 2 shown]
	v_add_f16_e32 v72, v8, v11
	v_fma_f16 v72, v72, -0.5, v131
	v_fma_f16 v83, v79, s3, v72
	v_sub_f16_e32 v8, v9, v8
	v_sub_f16_e32 v9, v10, v11
	v_add_f16_e32 v11, v102, v87
	v_fma_f16 v83, v73, s12, v83
	v_add_f16_e32 v8, v8, v9
	v_fma_f16 v10, v79, s9, v72
	v_fma_f16 v11, v11, -0.5, v67
	v_sub_f16_e32 v72, v12, v15
	v_fma_f16 v66, v126, s8, v66
	v_fma_f16 v9, v8, s8, v83
	;; [unrolled: 1-line block ×4, first 2 shown]
	v_sub_f16_e32 v79, v13, v14
	v_sub_f16_e32 v83, v86, v102
	;; [unrolled: 1-line block ×3, first 2 shown]
	v_fma_f16 v73, v79, s2, v73
	v_add_f16_e32 v83, v83, v126
	v_fma_f16 v126, v83, s8, v73
	v_add_f16_e32 v73, v86, v118
	v_lshrrev_b32_e32 v136, 16, v67
	v_fma_f16 v8, v8, s8, v10
	v_add_f16_e32 v10, v67, v86
	v_fma_f16 v67, v73, -0.5, v67
	v_fma_f16 v73, v79, s9, v67
	v_fma_f16 v67, v79, s3, v67
	;; [unrolled: 1-line block ×5, first 2 shown]
	v_add_f16_e32 v72, v136, v12
	v_fma_f16 v11, v79, s12, v11
	v_add_f16_e32 v72, v72, v13
	v_fma_f16 v11, v83, s8, v11
	v_sub_f16_e32 v83, v102, v86
	v_sub_f16_e32 v131, v87, v118
	v_add_f16_e32 v72, v72, v14
	v_add_f16_e32 v83, v83, v131
	v_add_f16_e32 v79, v72, v15
	v_add_f16_e32 v72, v13, v14
	v_add_f16_e32 v10, v10, v102
	v_fma_f16 v131, v83, s8, v73
	v_fma_f16 v72, v72, -0.5, v136
	v_sub_f16_e32 v73, v86, v118
	v_add_f16_e32 v10, v10, v87
	v_fma_f16 v67, v83, s8, v67
	v_fma_f16 v83, v73, s9, v72
	v_sub_f16_e32 v86, v102, v87
	v_sub_f16_e32 v87, v12, v13
	;; [unrolled: 1-line block ×3, first 2 shown]
	v_fma_f16 v72, v73, s3, v72
	v_fma_f16 v83, v86, s12, v83
	v_add_f16_e32 v87, v87, v102
	v_fma_f16 v72, v86, s2, v72
	v_fma_f16 v83, v87, s8, v83
	;; [unrolled: 1-line block ×3, first 2 shown]
	v_add_f16_e32 v72, v12, v15
	v_fma_f16 v72, v72, -0.5, v136
	v_fma_f16 v102, v86, s3, v72
	v_sub_f16_e32 v12, v13, v12
	v_sub_f16_e32 v13, v14, v15
	v_fma_f16 v14, v86, s9, v72
	v_add_f16_e32 v15, v119, v74
	v_fma_f16 v102, v73, s12, v102
	v_add_f16_e32 v12, v12, v13
	v_fma_f16 v14, v73, s2, v14
	v_fma_f16 v15, v15, -0.5, v46
	v_sub_f16_e32 v73, v16, v19
	v_add_f16_e32 v10, v10, v118
	v_fma_f16 v13, v12, s8, v102
	v_fma_f16 v72, v73, s3, v15
	v_sub_f16_e32 v86, v17, v18
	v_sub_f16_e32 v102, v103, v119
	;; [unrolled: 1-line block ×3, first 2 shown]
	v_fma_f16 v15, v73, s9, v15
	v_fma_f16 v72, v86, s2, v72
	v_add_f16_e32 v102, v102, v118
	v_fma_f16 v15, v86, s12, v15
	v_fma_f16 v118, v102, s8, v72
	;; [unrolled: 1-line block ×3, first 2 shown]
	v_add_f16_e32 v15, v103, v120
	v_fma_f16 v15, v15, -0.5, v46
	v_lshrrev_b32_e32 v142, 16, v46
	v_fma_f16 v12, v12, s8, v14
	v_add_f16_e32 v14, v46, v103
	v_fma_f16 v46, v86, s9, v15
	v_fma_f16 v15, v86, s3, v15
	;; [unrolled: 1-line block ×4, first 2 shown]
	v_add_f16_e32 v73, v142, v16
	v_add_f16_e32 v73, v73, v17
	v_sub_f16_e32 v102, v119, v103
	v_sub_f16_e32 v133, v74, v120
	v_add_f16_e32 v73, v73, v18
	v_add_f16_e32 v14, v14, v119
	;; [unrolled: 1-line block ×6, first 2 shown]
	v_fma_f16 v46, v102, s8, v46
	v_fma_f16 v15, v102, s8, v15
	v_fma_f16 v73, v73, -0.5, v142
	v_sub_f16_e32 v102, v103, v120
	v_add_f16_e32 v14, v14, v120
	v_fma_f16 v103, v102, s9, v73
	v_sub_f16_e32 v74, v119, v74
	v_sub_f16_e32 v119, v16, v17
	;; [unrolled: 1-line block ×3, first 2 shown]
	v_fma_f16 v73, v102, s3, v73
	v_fma_f16 v103, v74, s12, v103
	v_add_f16_e32 v119, v119, v120
	v_fma_f16 v73, v74, s2, v73
	v_fma_f16 v103, v119, s8, v103
	;; [unrolled: 1-line block ×3, first 2 shown]
	v_add_f16_e32 v119, v16, v19
	v_fma_f16 v119, v119, -0.5, v142
	v_fma_f16 v120, v74, s3, v119
	v_sub_f16_e32 v16, v17, v16
	v_sub_f16_e32 v17, v18, v19
	v_fma_f16 v18, v74, s9, v119
	v_pack_b32_f16 v1, v128, v1
	v_pack_b32_f16 v0, v68, v0
	v_fma_f16 v120, v102, s12, v120
	v_add_f16_e32 v16, v16, v17
	v_fma_f16 v18, v102, s2, v18
	s_barrier
	ds_write2_b32 v104, v1, v0 offset0:26 offset1:39
	v_pack_b32_f16 v0, v123, v127
	v_fma_f16 v17, v16, s8, v120
	v_fma_f16 v16, v16, s8, v18
	v_pack_b32_f16 v18, v121, v124
	v_pack_b32_f16 v19, v125, v130
	ds_write_b32 v104, v0 offset:208
	v_pack_b32_f16 v0, v2, v69
	v_pack_b32_f16 v1, v70, v78
	ds_write2_b32 v104, v18, v19 offset1:13
	ds_write2_b32 v105, v0, v1 offset1:13
	v_pack_b32_f16 v0, v75, v5
	v_pack_b32_f16 v1, v47, v4
	ds_write2_b32 v105, v0, v1 offset0:26 offset1:39
	v_pack_b32_f16 v0, v3, v80
	ds_write_b32 v105, v0 offset:208
	v_pack_b32_f16 v0, v6, v76
	v_pack_b32_f16 v1, v129, v77
	ds_write2_b32 v106, v0, v1 offset1:13
	v_pack_b32_f16 v0, v132, v9
	v_pack_b32_f16 v1, v66, v8
	ds_write2_b32 v106, v0, v1 offset0:26 offset1:39
	v_pack_b32_f16 v0, v7, v81
	ds_write_b32 v106, v0 offset:208
	v_pack_b32_f16 v0, v10, v79
	v_pack_b32_f16 v1, v126, v83
	;; [unrolled: 8-line block ×3, first 2 shown]
	ds_write2_b32 v108, v0, v1 offset1:13
	v_pack_b32_f16 v0, v46, v17
	v_pack_b32_f16 v1, v15, v16
	ds_write2_b32 v108, v0, v1 offset0:26 offset1:39
	v_pack_b32_f16 v0, v72, v73
	ds_write_b32 v108, v0 offset:208
	s_waitcnt lgkmcnt(0)
	s_barrier
	ds_read2_b32 v[6:7], v45 offset1:39
	ds_read2_b32 v[66:67], v85 offset0:69 offset1:108
	ds_read2_b32 v[46:47], v101 offset0:138 offset1:177
	ds_read2_b32 v[4:5], v45 offset0:78 offset1:117
	ds_read2_b32 v[18:19], v85 offset0:147 offset1:186
	ds_read2_b32 v[16:17], v101 offset0:216 offset1:255
	ds_read2_b32 v[2:3], v45 offset0:156 offset1:195
	v_add_u32_e32 v0, 0x600, v45
	ds_read2_b32 v[14:15], v0 offset0:97 offset1:136
	ds_read2_b32 v[12:13], v122 offset0:38 offset1:77
	;; [unrolled: 1-line block ×5, first 2 shown]
	s_and_saveexec_b64 s[2:3], s[0:1]
	s_cbranch_execz .LBB0_19
; %bb.18:
	ds_read_b32 v72, v45 offset:1248
	ds_read_b32 v82, v45 offset:2548
	;; [unrolled: 1-line block ×3, first 2 shown]
	s_waitcnt lgkmcnt(2)
	v_lshrrev_b32_e32 v73, 16, v72
	s_waitcnt lgkmcnt(1)
	v_lshrrev_b32_e32 v84, 16, v82
	;; [unrolled: 2-line block ×3, first 2 shown]
.LBB0_19:
	s_or_b64 exec, exec, s[2:3]
	s_waitcnt lgkmcnt(10)
	v_lshrrev_b32_e32 v75, 16, v66
	v_mul_f16_sdwa v121, v50, v75 dst_sel:DWORD dst_unused:UNUSED_PAD src0_sel:WORD_1 src1_sel:DWORD
	s_waitcnt lgkmcnt(9)
	v_lshrrev_b32_e32 v76, 16, v46
	v_fma_f16 v121, v50, v66, v121
	v_mul_f16_sdwa v66, v50, v66 dst_sel:DWORD dst_unused:UNUSED_PAD src0_sel:WORD_1 src1_sel:DWORD
	v_fma_f16 v50, v50, v75, -v66
	v_mul_f16_sdwa v66, v51, v76 dst_sel:DWORD dst_unused:UNUSED_PAD src0_sel:WORD_1 src1_sel:DWORD
	v_lshrrev_b32_e32 v78, 16, v67
	v_fma_f16 v66, v51, v46, v66
	v_mul_f16_sdwa v46, v51, v46 dst_sel:DWORD dst_unused:UNUSED_PAD src0_sel:WORD_1 src1_sel:DWORD
	v_fma_f16 v46, v51, v76, -v46
	v_mul_f16_sdwa v51, v54, v78 dst_sel:DWORD dst_unused:UNUSED_PAD src0_sel:WORD_1 src1_sel:DWORD
	v_lshrrev_b32_e32 v79, 16, v47
	v_fma_f16 v51, v54, v67, v51
	v_mul_f16_sdwa v67, v54, v67 dst_sel:DWORD dst_unused:UNUSED_PAD src0_sel:WORD_1 src1_sel:DWORD
	v_fma_f16 v54, v54, v78, -v67
	v_mul_f16_sdwa v67, v55, v79 dst_sel:DWORD dst_unused:UNUSED_PAD src0_sel:WORD_1 src1_sel:DWORD
	s_waitcnt lgkmcnt(7)
	v_lshrrev_b32_e32 v81, 16, v18
	v_fma_f16 v67, v55, v47, v67
	v_mul_f16_sdwa v47, v55, v47 dst_sel:DWORD dst_unused:UNUSED_PAD src0_sel:WORD_1 src1_sel:DWORD
	v_fma_f16 v47, v55, v79, -v47
	v_mul_f16_sdwa v55, v56, v81 dst_sel:DWORD dst_unused:UNUSED_PAD src0_sel:WORD_1 src1_sel:DWORD
	s_waitcnt lgkmcnt(6)
	v_lshrrev_b32_e32 v83, 16, v16
	v_fma_f16 v55, v56, v18, v55
	v_mul_f16_sdwa v18, v56, v18 dst_sel:DWORD dst_unused:UNUSED_PAD src0_sel:WORD_1 src1_sel:DWORD
	v_fma_f16 v18, v56, v81, -v18
	v_mul_f16_sdwa v56, v57, v83 dst_sel:DWORD dst_unused:UNUSED_PAD src0_sel:WORD_1 src1_sel:DWORD
	v_lshrrev_b32_e32 v86, 16, v19
	v_fma_f16 v56, v57, v16, v56
	v_mul_f16_sdwa v16, v57, v16 dst_sel:DWORD dst_unused:UNUSED_PAD src0_sel:WORD_1 src1_sel:DWORD
	v_fma_f16 v16, v57, v83, -v16
	v_mul_f16_sdwa v57, v52, v86 dst_sel:DWORD dst_unused:UNUSED_PAD src0_sel:WORD_1 src1_sel:DWORD
	v_lshrrev_b32_e32 v87, 16, v17
	v_fma_f16 v57, v52, v19, v57
	v_mul_f16_sdwa v19, v52, v19 dst_sel:DWORD dst_unused:UNUSED_PAD src0_sel:WORD_1 src1_sel:DWORD
	v_fma_f16 v19, v52, v86, -v19
	v_mul_f16_sdwa v52, v53, v87 dst_sel:DWORD dst_unused:UNUSED_PAD src0_sel:WORD_1 src1_sel:DWORD
	s_waitcnt lgkmcnt(4)
	v_lshrrev_b32_e32 v102, 16, v14
	v_fma_f16 v52, v53, v17, v52
	v_mul_f16_sdwa v17, v53, v17 dst_sel:DWORD dst_unused:UNUSED_PAD src0_sel:WORD_1 src1_sel:DWORD
	v_fma_f16 v17, v53, v87, -v17
	;; [unrolled: 22-line block ×3, first 2 shown]
	v_mul_f16_sdwa v61, v62, v108 dst_sel:DWORD dst_unused:UNUSED_PAD src0_sel:WORD_1 src1_sel:DWORD
	v_add_u32_e32 v70, 0x138, v117
	v_add_u32_e32 v69, 0x1d4, v117
	;; [unrolled: 1-line block ×3, first 2 shown]
	s_waitcnt lgkmcnt(0)
	v_lshrrev_b32_e32 v117, 16, v8
	v_fma_f16 v61, v62, v10, v61
	v_mul_f16_sdwa v10, v62, v10 dst_sel:DWORD dst_unused:UNUSED_PAD src0_sel:WORD_1 src1_sel:DWORD
	v_fma_f16 v10, v62, v108, -v10
	v_mul_f16_sdwa v62, v63, v117 dst_sel:DWORD dst_unused:UNUSED_PAD src0_sel:WORD_1 src1_sel:DWORD
	v_lshrrev_b32_e32 v119, 16, v11
	v_fma_f16 v62, v63, v8, v62
	v_mul_f16_sdwa v8, v63, v8 dst_sel:DWORD dst_unused:UNUSED_PAD src0_sel:WORD_1 src1_sel:DWORD
	v_fma_f16 v8, v63, v117, -v8
	v_mul_f16_sdwa v63, v64, v119 dst_sel:DWORD dst_unused:UNUSED_PAD src0_sel:WORD_1 src1_sel:DWORD
	;; [unrolled: 5-line block ×3, first 2 shown]
	v_fma_f16 v64, v65, v9, v64
	v_mul_f16_sdwa v9, v65, v9 dst_sel:DWORD dst_unused:UNUSED_PAD src0_sel:WORD_1 src1_sel:DWORD
	v_add_f16_e32 v75, v121, v66
	v_lshrrev_b32_e32 v74, 16, v6
	v_fma_f16 v9, v65, v120, -v9
	v_add_f16_e32 v65, v6, v121
	v_fma_f16 v6, v75, -0.5, v6
	v_sub_f16_e32 v75, v50, v46
	s_mov_b32 s8, 0xbaee
	s_movk_i32 s9, 0x3aee
	v_fma_f16 v76, v75, s8, v6
	v_fma_f16 v6, v75, s9, v6
	v_add_f16_e32 v75, v74, v50
	v_add_f16_e32 v75, v75, v46
	;; [unrolled: 1-line block ×3, first 2 shown]
	v_fma_f16 v46, v46, -0.5, v74
	v_sub_f16_e32 v50, v121, v66
	v_add_f16_e32 v74, v51, v67
	v_lshrrev_b32_e32 v77, 16, v7
	v_add_f16_e32 v65, v65, v66
	v_fma_f16 v66, v50, s9, v46
	v_fma_f16 v46, v50, s8, v46
	v_add_f16_e32 v50, v7, v51
	v_fma_f16 v7, v74, -0.5, v7
	v_sub_f16_e32 v74, v54, v47
	v_fma_f16 v78, v74, s8, v7
	v_fma_f16 v7, v74, s9, v7
	v_add_f16_e32 v74, v77, v54
	v_add_f16_e32 v74, v74, v47
	;; [unrolled: 1-line block ×4, first 2 shown]
	v_fma_f16 v47, v47, -0.5, v77
	v_sub_f16_e32 v51, v51, v67
	v_add_f16_e32 v67, v55, v56
	v_lshrrev_b32_e32 v80, 16, v4
	v_fma_f16 v54, v51, s9, v47
	v_fma_f16 v47, v51, s8, v47
	v_add_f16_e32 v51, v4, v55
	v_fma_f16 v4, v67, -0.5, v4
	v_sub_f16_e32 v67, v18, v16
	v_fma_f16 v77, v67, s8, v4
	v_fma_f16 v4, v67, s9, v4
	v_add_f16_e32 v67, v80, v18
	v_add_f16_e32 v67, v67, v16
	;; [unrolled: 1-line block ×4, first 2 shown]
	v_fma_f16 v16, v16, -0.5, v80
	v_sub_f16_e32 v18, v55, v56
	v_add_f16_e32 v56, v57, v52
	v_lshrrev_b32_e32 v85, 16, v5
	v_fma_f16 v55, v18, s9, v16
	v_fma_f16 v16, v18, s8, v16
	v_add_f16_e32 v18, v5, v57
	v_fma_f16 v5, v56, -0.5, v5
	v_sub_f16_e32 v56, v19, v17
	v_fma_f16 v79, v56, s8, v5
	v_fma_f16 v5, v56, s9, v5
	v_add_f16_e32 v56, v85, v19
	v_add_f16_e32 v56, v56, v17
	;; [unrolled: 1-line block ×3, first 2 shown]
	v_fma_f16 v17, v17, -0.5, v85
	v_sub_f16_e32 v19, v57, v52
	v_add_f16_e32 v57, v53, v58
	v_lshrrev_b32_e32 v101, 16, v2
	v_add_f16_e32 v18, v18, v52
	v_fma_f16 v52, v19, s9, v17
	v_fma_f16 v17, v19, s8, v17
	v_add_f16_e32 v19, v2, v53
	v_fma_f16 v2, v57, -0.5, v2
	v_sub_f16_e32 v57, v14, v12
	v_fma_f16 v80, v57, s8, v2
	v_fma_f16 v2, v57, s9, v2
	v_add_f16_e32 v57, v101, v14
	v_add_f16_e32 v57, v57, v12
	v_add_f16_e32 v12, v14, v12
	v_add_f16_e32 v19, v19, v58
	v_fma_f16 v12, v12, -0.5, v101
	v_sub_f16_e32 v14, v53, v58
	v_add_f16_e32 v58, v59, v60
	v_lshrrev_b32_e32 v104, 16, v3
	v_fma_f16 v53, v14, s9, v12
	v_fma_f16 v12, v14, s8, v12
	v_add_f16_e32 v14, v3, v59
	v_fma_f16 v3, v58, -0.5, v3
	v_sub_f16_e32 v58, v15, v13
	v_fma_f16 v81, v58, s8, v3
	v_fma_f16 v3, v58, s9, v3
	v_add_f16_e32 v58, v104, v15
	v_add_f16_e32 v58, v58, v13
	v_add_f16_e32 v13, v15, v13
	v_add_f16_e32 v14, v14, v60
	v_fma_f16 v13, v13, -0.5, v104
	v_sub_f16_e32 v15, v59, v60
	v_add_f16_e32 v60, v61, v62
	v_lshrrev_b32_e32 v107, 16, v0
	;; [unrolled: 15-line block ×3, first 2 shown]
	v_fma_f16 v61, v10, s9, v8
	v_fma_f16 v8, v10, s8, v8
	v_add_f16_e32 v10, v1, v63
	v_fma_f16 v1, v62, -0.5, v1
	v_sub_f16_e32 v62, v11, v9
	v_fma_f16 v85, v62, s8, v1
	v_fma_f16 v1, v62, s9, v1
	v_add_f16_e32 v62, v118, v11
	v_add_f16_e32 v62, v62, v9
	;; [unrolled: 1-line block ×3, first 2 shown]
	v_fma_f16 v9, v9, -0.5, v118
	v_sub_f16_e32 v11, v63, v64
	v_add_f16_e32 v10, v10, v64
	v_fma_f16 v63, v11, s9, v9
	v_fma_f16 v9, v11, s8, v9
	v_pack_b32_f16 v11, v65, v75
	v_pack_b32_f16 v64, v76, v66
	v_pack_b32_f16 v6, v6, v46
	s_barrier
	ds_write2_b32 v45, v11, v64 offset1:65
	ds_write_b32 v45, v6 offset:520
	v_pack_b32_f16 v6, v50, v74
	v_pack_b32_f16 v11, v78, v54
	ds_write2_b32 v111, v6, v11 offset1:65
	v_pack_b32_f16 v6, v7, v47
	ds_write_b32 v111, v6 offset:520
	v_pack_b32_f16 v6, v51, v67
	v_pack_b32_f16 v7, v77, v55
	;; [unrolled: 1-line block ×3, first 2 shown]
	ds_write2_b32 v71, v6, v7 offset0:80 offset1:145
	ds_write_b32 v45, v4 offset:1352
	v_pack_b32_f16 v4, v18, v56
	v_pack_b32_f16 v6, v79, v52
	ds_write2_b32 v112, v4, v6 offset1:65
	v_pack_b32_f16 v4, v5, v17
	ds_write_b32 v112, v4 offset:520
	v_pack_b32_f16 v4, v19, v57
	v_pack_b32_f16 v5, v80, v53
	v_add_u32_e32 v6, 0x400, v113
	v_pack_b32_f16 v2, v2, v12
	ds_write2_b32 v6, v4, v5 offset0:134 offset1:199
	ds_write_b32 v113, v2 offset:2080
	v_pack_b32_f16 v2, v14, v58
	v_pack_b32_f16 v4, v81, v59
	v_add_u32_e32 v5, 0x800, v114
	ds_write2_b32 v5, v2, v4 offset0:73 offset1:138
	v_pack_b32_f16 v2, v3, v13
	ds_write_b32 v114, v2 offset:2860
	v_pack_b32_f16 v2, v15, v60
	v_pack_b32_f16 v3, v83, v61
	;; [unrolled: 1-line block ×3, first 2 shown]
	ds_write2_b32 v115, v2, v3 offset1:65
	ds_write_b32 v115, v0 offset:520
	v_pack_b32_f16 v0, v10, v62
	v_pack_b32_f16 v2, v85, v63
	v_add_u32_e32 v3, 0xc00, v116
	ds_write2_b32 v3, v0, v2 offset0:12 offset1:77
	v_pack_b32_f16 v0, v1, v9
	ds_write_b32 v116, v0 offset:3640
	s_and_saveexec_b64 s[2:3], s[0:1]
	s_cbranch_execz .LBB0_21
; %bb.20:
	v_mul_f16_sdwa v0, v48, v82 dst_sel:DWORD dst_unused:UNUSED_PAD src0_sel:WORD_1 src1_sel:DWORD
	v_mul_f16_sdwa v1, v49, v43 dst_sel:DWORD dst_unused:UNUSED_PAD src0_sel:WORD_1 src1_sel:DWORD
	v_fma_f16 v0, v48, v84, -v0
	v_fma_f16 v1, v49, v109, -v1
	v_mul_f16_sdwa v3, v48, v84 dst_sel:DWORD dst_unused:UNUSED_PAD src0_sel:WORD_1 src1_sel:DWORD
	v_mul_f16_sdwa v4, v49, v109 dst_sel:DWORD dst_unused:UNUSED_PAD src0_sel:WORD_1 src1_sel:DWORD
	v_add_f16_e32 v2, v0, v1
	v_fma_f16 v3, v48, v82, v3
	v_fma_f16 v4, v49, v43, v4
	v_fma_f16 v2, v2, -0.5, v73
	v_sub_f16_e32 v5, v3, v4
	v_add_f16_e32 v7, v3, v4
	v_fma_f16 v6, v5, s8, v2
	v_fma_f16 v2, v5, s9, v2
	v_add_f16_e32 v5, v73, v0
	v_fma_f16 v7, v7, -0.5, v72
	v_sub_f16_e32 v0, v0, v1
	v_add_f16_e32 v3, v72, v3
	v_add_f16_e32 v5, v5, v1
	v_fma_f16 v1, v0, s9, v7
	v_fma_f16 v0, v0, s8, v7
	v_add_f16_e32 v3, v3, v4
	v_pack_b32_f16 v3, v3, v5
	v_pack_b32_f16 v0, v0, v2
	v_add_u32_e32 v2, 0xc00, v110
	ds_write2_b32 v2, v3, v0 offset0:12 offset1:77
	v_pack_b32_f16 v0, v1, v6
	ds_write_b32 v110, v0 offset:3640
.LBB0_21:
	s_or_b64 exec, exec, s[2:3]
	s_waitcnt lgkmcnt(0)
	s_barrier
	ds_read2_b32 v[10:11], v45 offset1:39
	ds_read2_b32 v[2:3], v45 offset0:156 offset1:195
	v_add_u32_e32 v8, 0x400, v45
	ds_read2_b32 v[12:13], v8 offset0:134 offset1:173
	v_add_u32_e32 v7, 0x800, v45
	ds_read2_b32 v[14:15], v7 offset0:34 offset1:73
	s_waitcnt lgkmcnt(2)
	v_lshrrev_b32_e32 v43, 16, v3
	v_add_u32_e32 v6, 0xc00, v45
	ds_read2_b32 v[16:17], v6 offset0:12 offset1:51
	v_mul_f16_sdwa v83, v20, v43 dst_sel:DWORD dst_unused:UNUSED_PAD src0_sel:WORD_1 src1_sel:DWORD
	s_waitcnt lgkmcnt(2)
	v_lshrrev_b32_e32 v56, 16, v12
	v_add_u32_e32 v9, 0x200, v45
	v_fma_f16 v83, v20, v3, v83
	v_mul_f16_sdwa v3, v20, v3 dst_sel:DWORD dst_unused:UNUSED_PAD src0_sel:WORD_1 src1_sel:DWORD
	ds_read2_b32 v[18:19], v9 offset0:106 offset1:145
	v_fma_f16 v3, v20, v43, -v3
	v_mul_f16_sdwa v20, v21, v56 dst_sel:DWORD dst_unused:UNUSED_PAD src0_sel:WORD_1 src1_sel:DWORD
	s_waitcnt lgkmcnt(2)
	v_lshrrev_b32_e32 v57, 16, v15
	v_fma_f16 v20, v21, v12, v20
	v_mul_f16_sdwa v12, v21, v12 dst_sel:DWORD dst_unused:UNUSED_PAD src0_sel:WORD_1 src1_sel:DWORD
	v_fma_f16 v12, v21, v56, -v12
	v_mul_f16_sdwa v21, v22, v57 dst_sel:DWORD dst_unused:UNUSED_PAD src0_sel:WORD_1 src1_sel:DWORD
	s_waitcnt lgkmcnt(1)
	v_lshrrev_b32_e32 v58, 16, v16
	v_fma_f16 v21, v22, v15, v21
	v_mul_f16_sdwa v15, v22, v15 dst_sel:DWORD dst_unused:UNUSED_PAD src0_sel:WORD_1 src1_sel:DWORD
	ds_read2_b32 v[46:47], v7 offset0:112 offset1:151
	v_fma_f16 v15, v22, v57, -v15
	v_mul_f16_sdwa v22, v23, v58 dst_sel:DWORD dst_unused:UNUSED_PAD src0_sel:WORD_1 src1_sel:DWORD
	s_waitcnt lgkmcnt(1)
	v_lshrrev_b32_e32 v60, 16, v18
	v_fma_f16 v22, v23, v16, v22
	v_mul_f16_sdwa v16, v23, v16 dst_sel:DWORD dst_unused:UNUSED_PAD src0_sel:WORD_1 src1_sel:DWORD
	v_fma_f16 v16, v23, v58, -v16
	v_mul_f16_sdwa v23, v24, v60 dst_sel:DWORD dst_unused:UNUSED_PAD src0_sel:WORD_1 src1_sel:DWORD
	v_lshrrev_b32_e32 v61, 16, v13
	v_fma_f16 v23, v24, v18, v23
	v_mul_f16_sdwa v18, v24, v18 dst_sel:DWORD dst_unused:UNUSED_PAD src0_sel:WORD_1 src1_sel:DWORD
	v_fma_f16 v18, v24, v60, -v18
	v_mul_f16_sdwa v24, v25, v61 dst_sel:DWORD dst_unused:UNUSED_PAD src0_sel:WORD_1 src1_sel:DWORD
	s_waitcnt lgkmcnt(0)
	v_lshrrev_b32_e32 v62, 16, v46
	ds_read2_b32 v[48:49], v8 offset0:212 offset1:251
	v_fma_f16 v24, v25, v13, v24
	v_mul_f16_sdwa v13, v25, v13 dst_sel:DWORD dst_unused:UNUSED_PAD src0_sel:WORD_1 src1_sel:DWORD
	v_lshrrev_b32_e32 v63, 16, v17
	v_fma_f16 v13, v25, v61, -v13
	v_mul_f16_sdwa v25, v26, v62 dst_sel:DWORD dst_unused:UNUSED_PAD src0_sel:WORD_1 src1_sel:DWORD
	v_mul_f16_sdwa v43, v26, v46 dst_sel:DWORD dst_unused:UNUSED_PAD src0_sel:WORD_1 src1_sel:DWORD
	v_fma_f16 v25, v26, v46, v25
	v_fma_f16 v26, v26, v62, -v43
	v_mul_f16_sdwa v43, v27, v63 dst_sel:DWORD dst_unused:UNUSED_PAD src0_sel:WORD_1 src1_sel:DWORD
	v_lshrrev_b32_e32 v65, 16, v19
	ds_read2_b32 v[50:51], v6 offset0:90 offset1:129
	v_fma_f16 v43, v27, v17, v43
	v_mul_f16_sdwa v17, v27, v17 dst_sel:DWORD dst_unused:UNUSED_PAD src0_sel:WORD_1 src1_sel:DWORD
	ds_read2_b32 v[52:53], v8 offset0:56 offset1:95
	v_fma_f16 v17, v27, v63, -v17
	v_mul_f16_sdwa v27, v28, v65 dst_sel:DWORD dst_unused:UNUSED_PAD src0_sel:WORD_1 src1_sel:DWORD
	s_waitcnt lgkmcnt(2)
	v_lshrrev_b32_e32 v66, 16, v48
	v_fma_f16 v27, v28, v19, v27
	v_mul_f16_sdwa v19, v28, v19 dst_sel:DWORD dst_unused:UNUSED_PAD src0_sel:WORD_1 src1_sel:DWORD
	v_lshrrev_b32_e32 v67, 16, v47
	v_fma_f16 v19, v28, v65, -v19
	v_mul_f16_sdwa v28, v29, v66 dst_sel:DWORD dst_unused:UNUSED_PAD src0_sel:WORD_1 src1_sel:DWORD
	v_mul_f16_sdwa v46, v29, v48 dst_sel:DWORD dst_unused:UNUSED_PAD src0_sel:WORD_1 src1_sel:DWORD
	ds_read2_b32 v[54:55], v7 offset0:190 offset1:229
	v_fma_f16 v28, v29, v48, v28
	v_fma_f16 v29, v29, v66, -v46
	v_mul_f16_sdwa v46, v30, v67 dst_sel:DWORD dst_unused:UNUSED_PAD src0_sel:WORD_1 src1_sel:DWORD
	s_waitcnt lgkmcnt(2)
	v_lshrrev_b32_e32 v71, 16, v50
	v_fma_f16 v46, v30, v47, v46
	v_mul_f16_sdwa v47, v30, v47 dst_sel:DWORD dst_unused:UNUSED_PAD src0_sel:WORD_1 src1_sel:DWORD
	s_waitcnt lgkmcnt(1)
	v_lshrrev_b32_e32 v73, 16, v52
	v_fma_f16 v30, v30, v67, -v47
	v_mul_f16_sdwa v47, v31, v71 dst_sel:DWORD dst_unused:UNUSED_PAD src0_sel:WORD_1 src1_sel:DWORD
	v_mul_f16_sdwa v48, v31, v50 dst_sel:DWORD dst_unused:UNUSED_PAD src0_sel:WORD_1 src1_sel:DWORD
	v_lshrrev_b32_e32 v74, 16, v49
	v_fma_f16 v47, v31, v50, v47
	v_fma_f16 v31, v31, v71, -v48
	v_mul_f16_sdwa v48, v36, v73 dst_sel:DWORD dst_unused:UNUSED_PAD src0_sel:WORD_1 src1_sel:DWORD
	v_mul_f16_sdwa v50, v36, v52 dst_sel:DWORD dst_unused:UNUSED_PAD src0_sel:WORD_1 src1_sel:DWORD
	v_fma_f16 v48, v36, v52, v48
	v_fma_f16 v36, v36, v73, -v50
	v_mul_f16_sdwa v50, v37, v74 dst_sel:DWORD dst_unused:UNUSED_PAD src0_sel:WORD_1 src1_sel:DWORD
	s_waitcnt lgkmcnt(0)
	v_lshrrev_b32_e32 v75, 16, v54
	v_fma_f16 v50, v37, v49, v50
	v_mul_f16_sdwa v49, v37, v49 dst_sel:DWORD dst_unused:UNUSED_PAD src0_sel:WORD_1 src1_sel:DWORD
	v_lshrrev_b32_e32 v76, 16, v51
	v_fma_f16 v37, v37, v74, -v49
	v_mul_f16_sdwa v49, v38, v75 dst_sel:DWORD dst_unused:UNUSED_PAD src0_sel:WORD_1 src1_sel:DWORD
	v_mul_f16_sdwa v52, v38, v54 dst_sel:DWORD dst_unused:UNUSED_PAD src0_sel:WORD_1 src1_sel:DWORD
	v_fma_f16 v49, v38, v54, v49
	v_fma_f16 v38, v38, v75, -v52
	v_mul_f16_sdwa v52, v39, v76 dst_sel:DWORD dst_unused:UNUSED_PAD src0_sel:WORD_1 src1_sel:DWORD
	ds_read_b32 v77, v45 offset:3744
	v_lshrrev_b32_e32 v79, 16, v53
	v_fma_f16 v52, v39, v51, v52
	v_mul_f16_sdwa v51, v39, v51 dst_sel:DWORD dst_unused:UNUSED_PAD src0_sel:WORD_1 src1_sel:DWORD
	v_fma_f16 v39, v39, v76, -v51
	v_mul_f16_sdwa v51, v32, v79 dst_sel:DWORD dst_unused:UNUSED_PAD src0_sel:WORD_1 src1_sel:DWORD
	v_lshrrev_b32_e32 v80, 16, v14
	v_fma_f16 v51, v32, v53, v51
	v_mul_f16_sdwa v53, v32, v53 dst_sel:DWORD dst_unused:UNUSED_PAD src0_sel:WORD_1 src1_sel:DWORD
	v_fma_f16 v32, v32, v79, -v53
	v_mul_f16_sdwa v53, v33, v80 dst_sel:DWORD dst_unused:UNUSED_PAD src0_sel:WORD_1 src1_sel:DWORD
	v_add_f16_e32 v56, v20, v21
	v_lshrrev_b32_e32 v81, 16, v55
	v_fma_f16 v53, v33, v14, v53
	v_mul_f16_sdwa v14, v33, v14 dst_sel:DWORD dst_unused:UNUSED_PAD src0_sel:WORD_1 src1_sel:DWORD
	v_fma_f16 v56, v56, -0.5, v10
	v_sub_f16_e32 v57, v3, v16
	s_mov_b32 s1, 0xbb9c
	s_movk_i32 s3, 0x3b9c
	s_waitcnt lgkmcnt(0)
	v_lshrrev_b32_e32 v82, 16, v77
	v_fma_f16 v14, v33, v80, -v14
	v_mul_f16_sdwa v33, v34, v81 dst_sel:DWORD dst_unused:UNUSED_PAD src0_sel:WORD_1 src1_sel:DWORD
	v_mul_f16_sdwa v54, v34, v55 dst_sel:DWORD dst_unused:UNUSED_PAD src0_sel:WORD_1 src1_sel:DWORD
	v_fma_f16 v58, v57, s1, v56
	v_sub_f16_e32 v60, v12, v15
	s_mov_b32 s0, 0xb8b4
	v_sub_f16_e32 v61, v83, v20
	v_sub_f16_e32 v62, v22, v21
	v_fma_f16 v56, v57, s3, v56
	s_movk_i32 s8, 0x38b4
	v_fma_f16 v33, v34, v55, v33
	v_fma_f16 v34, v34, v81, -v54
	v_mul_f16_sdwa v54, v35, v82 dst_sel:DWORD dst_unused:UNUSED_PAD src0_sel:WORD_1 src1_sel:DWORD
	v_mul_f16_sdwa v55, v35, v77 dst_sel:DWORD dst_unused:UNUSED_PAD src0_sel:WORD_1 src1_sel:DWORD
	v_fma_f16 v58, v60, s0, v58
	v_add_f16_e32 v61, v61, v62
	s_movk_i32 s2, 0x34f2
	v_fma_f16 v56, v60, s8, v56
	v_fma_f16 v54, v35, v77, v54
	v_fma_f16 v35, v35, v82, -v55
	v_add_f16_e32 v55, v10, v83
	v_fma_f16 v58, v61, s2, v58
	v_fma_f16 v56, v61, s2, v56
	v_add_f16_e32 v61, v83, v22
	v_lshrrev_b32_e32 v1, 16, v10
	v_add_f16_e32 v55, v55, v20
	v_fma_f16 v10, v61, -0.5, v10
	v_add_f16_e32 v55, v55, v21
	v_fma_f16 v61, v60, s3, v10
	v_sub_f16_e32 v62, v20, v83
	v_sub_f16_e32 v63, v21, v22
	v_fma_f16 v10, v60, s1, v10
	v_add_f16_e32 v60, v12, v15
	v_add_f16_e32 v55, v55, v22
	v_fma_f16 v61, v57, s0, v61
	v_add_f16_e32 v62, v62, v63
	v_fma_f16 v10, v57, s8, v10
	v_fma_f16 v60, v60, -0.5, v1
	v_sub_f16_e32 v22, v83, v22
	v_fma_f16 v61, v62, s2, v61
	v_fma_f16 v10, v62, s2, v10
	;; [unrolled: 1-line block ×3, first 2 shown]
	v_sub_f16_e32 v20, v20, v21
	v_fma_f16 v21, v20, s8, v62
	v_sub_f16_e32 v62, v3, v12
	v_sub_f16_e32 v63, v16, v15
	v_fma_f16 v60, v22, s1, v60
	v_add_f16_e32 v62, v62, v63
	v_fma_f16 v60, v20, s0, v60
	v_add_f16_e32 v57, v1, v3
	v_fma_f16 v21, v62, s2, v21
	v_fma_f16 v60, v62, s2, v60
	v_add_f16_e32 v62, v3, v16
	v_add_f16_e32 v57, v57, v12
	v_fma_f16 v1, v62, -0.5, v1
	v_add_f16_e32 v57, v57, v15
	v_fma_f16 v62, v20, s1, v1
	v_sub_f16_e32 v3, v12, v3
	v_sub_f16_e32 v12, v15, v16
	v_add_f16_e32 v15, v24, v25
	v_add_f16_e32 v57, v57, v16
	v_fma_f16 v62, v22, s8, v62
	v_add_f16_e32 v3, v3, v12
	v_fma_f16 v1, v20, s3, v1
	v_fma_f16 v15, v15, -0.5, v11
	v_sub_f16_e32 v16, v18, v17
	v_fma_f16 v12, v3, s2, v62
	v_fma_f16 v1, v22, s0, v1
	;; [unrolled: 1-line block ×3, first 2 shown]
	v_sub_f16_e32 v22, v13, v26
	v_sub_f16_e32 v62, v23, v24
	;; [unrolled: 1-line block ×3, first 2 shown]
	v_fma_f16 v15, v16, s3, v15
	v_fma_f16 v20, v22, s0, v20
	v_add_f16_e32 v62, v62, v63
	v_fma_f16 v15, v22, s8, v15
	v_fma_f16 v20, v62, s2, v20
	;; [unrolled: 1-line block ×3, first 2 shown]
	v_add_f16_e32 v62, v23, v43
	v_lshrrev_b32_e32 v59, 16, v11
	v_fma_f16 v1, v3, s2, v1
	v_add_f16_e32 v3, v11, v23
	v_fma_f16 v11, v62, -0.5, v11
	v_add_f16_e32 v3, v3, v24
	v_fma_f16 v62, v22, s3, v11
	v_fma_f16 v11, v22, s1, v11
	v_add_f16_e32 v22, v13, v26
	v_add_f16_e32 v3, v3, v25
	v_sub_f16_e32 v63, v24, v23
	v_sub_f16_e32 v65, v25, v43
	v_fma_f16 v22, v22, -0.5, v59
	v_sub_f16_e32 v23, v23, v43
	v_add_f16_e32 v3, v3, v43
	v_fma_f16 v62, v16, s0, v62
	v_add_f16_e32 v63, v63, v65
	v_fma_f16 v11, v16, s8, v11
	v_fma_f16 v43, v23, s3, v22
	v_sub_f16_e32 v24, v24, v25
	v_fma_f16 v62, v63, s2, v62
	v_fma_f16 v11, v63, s2, v11
	;; [unrolled: 1-line block ×3, first 2 shown]
	v_sub_f16_e32 v43, v18, v13
	v_sub_f16_e32 v63, v17, v26
	v_fma_f16 v22, v23, s1, v22
	ds_read2_b32 v[4:5], v45 offset0:78 offset1:117
	v_add_f16_e32 v43, v43, v63
	v_fma_f16 v22, v24, s0, v22
	v_add_f16_e32 v16, v59, v18
	v_fma_f16 v25, v43, s2, v25
	v_fma_f16 v22, v43, s2, v22
	v_add_f16_e32 v43, v18, v17
	v_add_f16_e32 v16, v16, v13
	v_fma_f16 v43, v43, -0.5, v59
	v_add_f16_e32 v16, v16, v26
	v_fma_f16 v59, v24, s1, v43
	v_sub_f16_e32 v13, v13, v18
	v_fma_f16 v18, v24, s3, v43
	v_add_f16_e32 v16, v16, v17
	v_fma_f16 v59, v23, s8, v59
	v_sub_f16_e32 v17, v26, v17
	v_fma_f16 v18, v23, s0, v18
	v_add_f16_e32 v23, v28, v46
	v_add_f16_e32 v13, v13, v17
	s_waitcnt lgkmcnt(0)
	v_fma_f16 v23, v23, -0.5, v4
	v_sub_f16_e32 v24, v19, v31
	v_fma_f16 v17, v13, s2, v59
	v_fma_f16 v26, v24, s1, v23
	v_sub_f16_e32 v43, v29, v30
	v_sub_f16_e32 v59, v27, v28
	v_sub_f16_e32 v63, v47, v46
	v_fma_f16 v23, v24, s3, v23
	v_fma_f16 v26, v43, s0, v26
	v_add_f16_e32 v59, v59, v63
	v_fma_f16 v23, v43, s8, v23
	v_fma_f16 v26, v59, s2, v26
	;; [unrolled: 1-line block ×3, first 2 shown]
	v_add_f16_e32 v59, v27, v47
	v_lshrrev_b32_e32 v64, 16, v4
	v_fma_f16 v13, v13, s2, v18
	v_add_f16_e32 v18, v4, v27
	v_fma_f16 v4, v59, -0.5, v4
	v_add_f16_e32 v18, v18, v28
	v_fma_f16 v59, v43, s3, v4
	v_fma_f16 v4, v43, s1, v4
	v_add_f16_e32 v43, v29, v30
	v_add_f16_e32 v18, v18, v46
	v_sub_f16_e32 v63, v28, v27
	v_sub_f16_e32 v65, v46, v47
	v_fma_f16 v43, v43, -0.5, v64
	v_sub_f16_e32 v27, v27, v47
	v_add_f16_e32 v18, v18, v47
	v_fma_f16 v59, v24, s0, v59
	v_add_f16_e32 v63, v63, v65
	v_fma_f16 v4, v24, s8, v4
	v_fma_f16 v47, v27, s3, v43
	v_sub_f16_e32 v28, v28, v46
	v_fma_f16 v59, v63, s2, v59
	v_fma_f16 v4, v63, s2, v4
	;; [unrolled: 1-line block ×3, first 2 shown]
	v_sub_f16_e32 v47, v19, v29
	v_sub_f16_e32 v63, v31, v30
	v_fma_f16 v43, v27, s1, v43
	v_add_f16_e32 v47, v47, v63
	v_fma_f16 v43, v28, s0, v43
	v_fma_f16 v46, v47, s2, v46
	;; [unrolled: 1-line block ×3, first 2 shown]
	v_add_f16_e32 v47, v19, v31
	v_fma_f16 v47, v47, -0.5, v64
	v_add_f16_e32 v24, v64, v19
	v_fma_f16 v63, v28, s1, v47
	v_fma_f16 v28, v28, s3, v47
	v_add_f16_e32 v24, v24, v29
	v_fma_f16 v63, v27, s8, v63
	v_sub_f16_e32 v19, v29, v19
	v_sub_f16_e32 v29, v30, v31
	v_fma_f16 v27, v27, s0, v28
	v_add_f16_e32 v28, v50, v49
	v_add_f16_e32 v24, v24, v30
	;; [unrolled: 1-line block ×3, first 2 shown]
	v_fma_f16 v28, v28, -0.5, v5
	v_sub_f16_e32 v30, v36, v39
	v_add_f16_e32 v24, v24, v31
	v_fma_f16 v29, v19, s2, v63
	v_fma_f16 v31, v30, s1, v28
	v_sub_f16_e32 v47, v37, v38
	v_sub_f16_e32 v63, v48, v50
	;; [unrolled: 1-line block ×3, first 2 shown]
	v_fma_f16 v28, v30, s3, v28
	v_fma_f16 v31, v47, s0, v31
	v_add_f16_e32 v63, v63, v64
	v_fma_f16 v28, v47, s8, v28
	v_fma_f16 v31, v63, s2, v31
	;; [unrolled: 1-line block ×3, first 2 shown]
	v_add_f16_e32 v63, v48, v52
	v_lshrrev_b32_e32 v72, 16, v5
	v_fma_f16 v19, v19, s2, v27
	v_add_f16_e32 v27, v5, v48
	v_fma_f16 v5, v63, -0.5, v5
	v_add_f16_e32 v27, v27, v50
	v_fma_f16 v63, v47, s3, v5
	v_fma_f16 v5, v47, s1, v5
	v_add_f16_e32 v47, v37, v38
	v_add_f16_e32 v27, v27, v49
	v_sub_f16_e32 v64, v50, v48
	v_sub_f16_e32 v65, v49, v52
	v_fma_f16 v47, v47, -0.5, v72
	v_sub_f16_e32 v48, v48, v52
	v_add_f16_e32 v27, v27, v52
	v_fma_f16 v63, v30, s0, v63
	v_add_f16_e32 v64, v64, v65
	v_fma_f16 v5, v30, s8, v5
	v_fma_f16 v52, v48, s3, v47
	v_sub_f16_e32 v49, v50, v49
	v_fma_f16 v63, v64, s2, v63
	v_fma_f16 v5, v64, s2, v5
	;; [unrolled: 1-line block ×3, first 2 shown]
	v_sub_f16_e32 v52, v36, v37
	v_sub_f16_e32 v64, v39, v38
	v_fma_f16 v47, v48, s1, v47
	v_add_f16_e32 v30, v72, v36
	v_add_f16_e32 v52, v52, v64
	v_fma_f16 v47, v49, s0, v47
	v_add_f16_e32 v30, v30, v37
	v_fma_f16 v50, v52, s2, v50
	v_fma_f16 v47, v52, s2, v47
	v_add_f16_e32 v52, v36, v39
	v_add_f16_e32 v30, v30, v38
	v_fma_f16 v52, v52, -0.5, v72
	v_add_f16_e32 v30, v30, v39
	v_fma_f16 v64, v49, s1, v52
	v_sub_f16_e32 v36, v37, v36
	v_sub_f16_e32 v37, v38, v39
	v_fma_f16 v38, v49, s3, v52
	v_add_f16_e32 v39, v53, v33
	v_fma_f16 v64, v48, s8, v64
	v_add_f16_e32 v36, v36, v37
	v_fma_f16 v38, v48, s0, v38
	v_fma_f16 v39, v39, -0.5, v2
	v_sub_f16_e32 v48, v32, v35
	v_fma_f16 v37, v36, s2, v64
	v_fma_f16 v49, v48, s1, v39
	v_sub_f16_e32 v52, v14, v34
	v_sub_f16_e32 v64, v51, v53
	;; [unrolled: 1-line block ×3, first 2 shown]
	v_fma_f16 v39, v48, s3, v39
	v_fma_f16 v49, v52, s0, v49
	v_add_f16_e32 v64, v64, v65
	v_fma_f16 v39, v52, s8, v39
	v_fma_f16 v49, v64, s2, v49
	;; [unrolled: 1-line block ×3, first 2 shown]
	v_add_f16_e32 v64, v51, v54
	v_lshrrev_b32_e32 v78, 16, v2
	v_fma_f16 v36, v36, s2, v38
	v_add_f16_e32 v38, v2, v51
	v_fma_f16 v2, v64, -0.5, v2
	v_add_f16_e32 v38, v38, v53
	v_fma_f16 v64, v52, s3, v2
	v_fma_f16 v2, v52, s1, v2
	v_add_f16_e32 v52, v14, v34
	v_add_f16_e32 v38, v38, v33
	v_sub_f16_e32 v65, v53, v51
	v_sub_f16_e32 v66, v33, v54
	v_fma_f16 v52, v52, -0.5, v78
	v_sub_f16_e32 v51, v51, v54
	v_add_f16_e32 v38, v38, v54
	v_fma_f16 v64, v48, s0, v64
	v_add_f16_e32 v65, v65, v66
	v_fma_f16 v2, v48, s8, v2
	v_fma_f16 v54, v51, s3, v52
	v_sub_f16_e32 v33, v53, v33
	v_fma_f16 v64, v65, s2, v64
	v_fma_f16 v2, v65, s2, v2
	v_fma_f16 v53, v33, s8, v54
	v_sub_f16_e32 v54, v32, v14
	v_sub_f16_e32 v65, v35, v34
	v_fma_f16 v52, v51, s1, v52
	v_add_f16_e32 v54, v54, v65
	v_fma_f16 v52, v33, s0, v52
	v_fma_f16 v53, v54, s2, v53
	v_fma_f16 v52, v54, s2, v52
	v_add_f16_e32 v54, v32, v35
	v_add_f16_e32 v48, v78, v32
	v_fma_f16 v54, v54, -0.5, v78
	v_add_f16_e32 v48, v48, v14
	v_fma_f16 v65, v33, s1, v54
	v_sub_f16_e32 v14, v14, v32
	v_sub_f16_e32 v32, v34, v35
	v_fma_f16 v33, v33, s3, v54
	v_fma_f16 v65, v51, s8, v65
	v_add_f16_e32 v14, v14, v32
	v_fma_f16 v33, v51, s0, v33
	v_fma_f16 v32, v14, s2, v65
	;; [unrolled: 1-line block ×3, first 2 shown]
	v_pack_b32_f16 v33, v55, v57
	v_pack_b32_f16 v3, v3, v16
	;; [unrolled: 1-line block ×3, first 2 shown]
	ds_write2_b32 v45, v33, v3 offset1:39
	v_pack_b32_f16 v3, v20, v25
	v_add_u32_e32 v16, 0x300, v45
	v_pack_b32_f16 v1, v10, v1
	ds_write2_b32 v16, v3, v12 offset0:42 offset1:198
	v_pack_b32_f16 v12, v62, v17
	v_add_u32_e32 v3, 0x600, v45
	v_pack_b32_f16 v10, v56, v60
	ds_write2_b32 v3, v12, v1 offset0:45 offset1:201
	v_pack_b32_f16 v1, v11, v13
	v_add_u32_e32 v11, 0x900, v45
	ds_write2_b32 v11, v1, v10 offset0:48 offset1:204
	v_pack_b32_f16 v10, v26, v46
	v_pack_b32_f16 v11, v59, v29
	v_add_u32_e32 v12, 0x300, v70
	v_pack_b32_f16 v1, v15, v22
	ds_write2_b32 v12, v10, v11 offset0:3 offset1:198
	v_pack_b32_f16 v4, v4, v19
	v_pack_b32_f16 v10, v23, v43
	v_add_u32_e32 v11, 0x900, v70
	ds_write_b32 v45, v1 offset:3276
	v_pack_b32_f16 v1, v18, v24
	ds_write2_b32 v11, v4, v10 offset0:9 offset1:204
	v_pack_b32_f16 v4, v27, v30
	v_add_f16_e32 v48, v48, v34
	ds_write2_b32 v45, v1, v4 offset0:78 offset1:117
	v_pack_b32_f16 v1, v31, v50
	v_pack_b32_f16 v4, v63, v37
	v_add_u32_e32 v10, 0x300, v69
	v_add_f16_e32 v48, v48, v35
	ds_write2_b32 v10, v1, v4 offset0:3 offset1:198
	v_pack_b32_f16 v1, v5, v36
	v_pack_b32_f16 v4, v28, v47
	v_add_u32_e32 v5, 0x900, v69
	v_pack_b32_f16 v21, v58, v21
	ds_write2_b32 v5, v1, v4 offset0:9 offset1:204
	v_pack_b32_f16 v1, v38, v48
	ds_write2_b32 v45, v1, v21 offset0:156 offset1:195
	v_pack_b32_f16 v1, v49, v53
	v_pack_b32_f16 v4, v64, v32
	v_add_u32_e32 v5, 0x300, v68
	ds_write2_b32 v5, v1, v4 offset0:3 offset1:198
	v_pack_b32_f16 v1, v2, v14
	v_pack_b32_f16 v2, v39, v52
	v_add_u32_e32 v4, 0x900, v68
	ds_write2_b32 v4, v1, v2 offset0:9 offset1:204
	s_waitcnt lgkmcnt(0)
	s_barrier
	ds_read2_b32 v[4:5], v45 offset1:75
	v_mad_u64_u32 v[10:11], s[0:1], s6, v44, 0
	v_mov_b32_e32 v2, v11
	v_mad_u64_u32 v[12:13], s[0:1], s7, v44, v[2:3]
	s_waitcnt lgkmcnt(0)
	v_lshrrev_b32_e32 v14, 16, v4
	v_mul_f16_sdwa v11, v100, v14 dst_sel:DWORD dst_unused:UNUSED_PAD src0_sel:WORD_1 src1_sel:DWORD
	v_fma_f16 v11, v100, v4, v11
	v_cvt_f32_f16_e32 v15, v11
	s_mov_b32 s6, 0xaa677344
	v_mov_b32_e32 v11, v12
	s_mov_b32 s7, 0x3f50cdd9
	v_cvt_f64_f32_e32 v[12:13], v15
	v_mul_f64 v[12:13], v[12:13], s[6:7]
	s_movk_i32 s14, 0x1ff
	v_and_or_b32 v2, v13, s14, v12
	v_cmp_ne_u32_e64 s[0:1], 0, v2
	v_lshrrev_b32_e32 v12, 8, v13
	s_movk_i32 s12, 0xffe
	v_cndmask_b32_e64 v2, 0, 1, s[0:1]
	v_bfe_u32 v15, v13, 20, 11
	v_and_or_b32 v12, v12, s12, v2
	v_sub_u32_e32 v16, 0x3f1, v15
	v_or_b32_e32 v2, 0x1000, v12
	v_med3_i32 v16, v16, 0, 13
	v_lshrrev_b32_e32 v17, v16, v2
	v_lshlrev_b32_e32 v16, v16, v17
	v_cmp_ne_u32_e64 s[0:1], v16, v2
	v_add_u32_e32 v15, 0xfffffc10, v15
	v_lshl_or_b32 v16, v15, 12, v12
	v_cndmask_b32_e64 v2, 0, 1, s[0:1]
	v_or_b32_e32 v2, v17, v2
	v_cmp_gt_i32_e64 s[0:1], 1, v15
	v_mul_f16_sdwa v4, v100, v4 dst_sel:DWORD dst_unused:UNUSED_PAD src0_sel:WORD_1 src1_sel:DWORD
	v_fma_f16 v4, v100, v14, -v4
	v_cndmask_b32_e64 v2, v16, v2, s[0:1]
	v_and_b32_e32 v16, 7, v2
	v_cmp_lt_i32_e64 s[0:1], 5, v16
	v_cmp_eq_u32_e64 s[2:3], 3, v16
	v_lshrrev_b32_e32 v2, 2, v2
	s_or_b64 s[0:1], s[2:3], s[0:1]
	v_addc_co_u32_e64 v16, s[0:1], 0, v2, s[0:1]
	v_mov_b32_e32 v2, 0x7c00
	v_cmp_gt_i32_e64 s[0:1], 31, v15
	v_cvt_f32_f16_e32 v4, v4
	v_mov_b32_e32 v0, s10
	v_cndmask_b32_e64 v16, v2, v16, s[0:1]
	v_cmp_ne_u32_e64 s[0:1], 0, v12
	s_movk_i32 s10, 0x40f
	v_mov_b32_e32 v1, s11
	v_cndmask_b32_e64 v12, 0, 1, s[0:1]
	v_lshl_or_b32 v12, v12, 9, v2
	v_cmp_eq_u32_e64 s[0:1], s10, v15
	s_mov_b32 s11, 0x8000
	v_and_b32_sdwa v17, v13, s11 dst_sel:DWORD dst_unused:UNUSED_PAD src0_sel:WORD_1 src1_sel:DWORD
	v_cndmask_b32_e64 v16, v16, v12, s[0:1]
	v_cvt_f64_f32_e32 v[12:13], v4
	v_mul_f64 v[12:13], v[12:13], s[6:7]
	v_and_or_b32 v4, v13, s14, v12
	v_cmp_ne_u32_e64 s[0:1], 0, v4
	v_lshrrev_b32_e32 v12, 8, v13
	v_bfe_u32 v14, v13, 20, 11
	v_cndmask_b32_e64 v4, 0, 1, s[0:1]
	v_and_or_b32 v4, v12, s12, v4
	v_sub_u32_e32 v15, 0x3f1, v14
	v_or_b32_e32 v12, 0x1000, v4
	v_med3_i32 v15, v15, 0, 13
	v_lshrrev_b32_e32 v18, v15, v12
	v_lshlrev_b32_e32 v15, v15, v18
	v_cmp_ne_u32_e64 s[0:1], v15, v12
	v_add_u32_e32 v14, 0xfffffc10, v14
	v_lshl_or_b32 v15, v14, 12, v4
	v_cndmask_b32_e64 v12, 0, 1, s[0:1]
	v_or_b32_e32 v12, v18, v12
	v_cmp_gt_i32_e64 s[0:1], 1, v14
	s_mov_b32 s13, 0xffff
	v_lshl_add_u64 v[0:1], v[10:11], 2, v[0:1]
	v_cndmask_b32_e64 v12, v15, v12, s[0:1]
	v_and_b32_e32 v15, 7, v12
	v_cmp_lt_i32_e64 s[0:1], 5, v15
	v_cmp_eq_u32_e64 s[2:3], 3, v15
	v_lshrrev_b32_e32 v12, 2, v12
	s_or_b64 s[0:1], s[2:3], s[0:1]
	v_addc_co_u32_e64 v12, s[0:1], 0, v12, s[0:1]
	v_cmp_gt_i32_e64 s[0:1], 31, v14
	s_nop 1
	v_cndmask_b32_e64 v12, v2, v12, s[0:1]
	v_cmp_ne_u32_e64 s[0:1], 0, v4
	s_nop 1
	v_cndmask_b32_e64 v4, 0, 1, s[0:1]
	v_lshl_or_b32 v4, v4, 9, v2
	v_cmp_eq_u32_e64 s[0:1], s10, v14
	s_nop 1
	v_cndmask_b32_e64 v4, v12, v4, s[0:1]
	v_lshrrev_b32_e32 v12, 16, v13
	v_and_or_b32 v18, v12, s11, v4
	v_mad_u64_u32 v[12:13], s[0:1], s4, v42, 0
	v_mov_b32_e32 v4, v13
	v_mad_u64_u32 v[14:15], s[0:1], s5, v42, v[4:5]
	v_mov_b32_e32 v13, v14
	v_lshrrev_b32_e32 v14, 16, v5
	v_mul_f16_sdwa v15, v99, v14 dst_sel:DWORD dst_unused:UNUSED_PAD src0_sel:WORD_1 src1_sel:DWORD
	v_fma_f16 v15, v99, v5, v15
	v_cvt_f32_f16_e32 v15, v15
	v_bitop3_b32 v4, v17, s13, v16 bitop3:0xc8
	v_lshl_or_b32 v4, v18, 16, v4
	v_lshl_add_u64 v[0:1], v[12:13], 2, v[0:1]
	v_cvt_f64_f32_e32 v[10:11], v15
	v_mul_f64 v[10:11], v[10:11], s[6:7]
	global_store_dword v[0:1], v4, off
	v_and_or_b32 v4, v11, s14, v10
	v_cmp_ne_u32_e64 s[0:1], 0, v4
	v_lshrrev_b32_e32 v10, 8, v11
	v_bfe_u32 v12, v11, 20, 11
	v_cndmask_b32_e64 v4, 0, 1, s[0:1]
	v_and_or_b32 v4, v10, s12, v4
	v_sub_u32_e32 v13, 0x3f1, v12
	v_or_b32_e32 v10, 0x1000, v4
	v_med3_i32 v13, v13, 0, 13
	v_lshrrev_b32_e32 v15, v13, v10
	v_lshlrev_b32_e32 v13, v13, v15
	v_cmp_ne_u32_e64 s[0:1], v13, v10
	v_add_u32_e32 v12, 0xfffffc10, v12
	v_lshl_or_b32 v13, v12, 12, v4
	v_cndmask_b32_e64 v10, 0, 1, s[0:1]
	v_or_b32_e32 v10, v15, v10
	v_cmp_gt_i32_e64 s[0:1], 1, v12
	v_mul_f16_sdwa v5, v99, v5 dst_sel:DWORD dst_unused:UNUSED_PAD src0_sel:WORD_1 src1_sel:DWORD
	v_fma_f16 v5, v99, v14, -v5
	v_cndmask_b32_e64 v10, v13, v10, s[0:1]
	v_and_b32_e32 v13, 7, v10
	v_cmp_lt_i32_e64 s[0:1], 5, v13
	v_cmp_eq_u32_e64 s[2:3], 3, v13
	v_lshrrev_b32_e32 v10, 2, v10
	s_or_b64 s[0:1], s[2:3], s[0:1]
	v_addc_co_u32_e64 v10, s[0:1], 0, v10, s[0:1]
	v_cmp_gt_i32_e64 s[0:1], 31, v12
	v_cvt_f32_f16_e32 v5, v5
	v_and_b32_sdwa v11, v11, s11 dst_sel:DWORD dst_unused:UNUSED_PAD src0_sel:WORD_1 src1_sel:DWORD
	v_cndmask_b32_e64 v10, v2, v10, s[0:1]
	v_cmp_ne_u32_e64 s[0:1], 0, v4
	s_nop 1
	v_cndmask_b32_e64 v4, 0, 1, s[0:1]
	v_lshl_or_b32 v4, v4, 9, v2
	v_cmp_eq_u32_e64 s[0:1], s10, v12
	s_nop 1
	v_cndmask_b32_e64 v10, v10, v4, s[0:1]
	v_cvt_f64_f32_e32 v[4:5], v5
	v_mul_f64 v[4:5], v[4:5], s[6:7]
	v_and_or_b32 v4, v5, s14, v4
	v_cmp_ne_u32_e64 s[0:1], 0, v4
	v_lshrrev_b32_e32 v12, 8, v5
	v_bfe_u32 v13, v5, 20, 11
	v_cndmask_b32_e64 v4, 0, 1, s[0:1]
	v_and_or_b32 v4, v12, s12, v4
	v_sub_u32_e32 v14, 0x3f1, v13
	v_or_b32_e32 v12, 0x1000, v4
	v_med3_i32 v14, v14, 0, 13
	v_lshrrev_b32_e32 v15, v14, v12
	v_lshlrev_b32_e32 v14, v14, v15
	v_cmp_ne_u32_e64 s[0:1], v14, v12
	v_add_u32_e32 v13, 0xfffffc10, v13
	v_lshl_or_b32 v14, v13, 12, v4
	v_cndmask_b32_e64 v12, 0, 1, s[0:1]
	v_or_b32_e32 v12, v15, v12
	v_cmp_gt_i32_e64 s[0:1], 1, v13
	v_lshrrev_b32_e32 v5, 16, v5
	v_bitop3_b32 v10, v11, s13, v10 bitop3:0xc8
	v_cndmask_b32_e64 v12, v14, v12, s[0:1]
	v_and_b32_e32 v14, 7, v12
	v_cmp_lt_i32_e64 s[0:1], 5, v14
	v_cmp_eq_u32_e64 s[2:3], 3, v14
	v_lshrrev_b32_e32 v12, 2, v12
	s_or_b64 s[0:1], s[2:3], s[0:1]
	v_addc_co_u32_e64 v12, s[0:1], 0, v12, s[0:1]
	v_cmp_gt_i32_e64 s[0:1], 31, v13
	s_nop 1
	v_cndmask_b32_e64 v12, v2, v12, s[0:1]
	v_cmp_ne_u32_e64 s[0:1], 0, v4
	s_nop 1
	v_cndmask_b32_e64 v4, 0, 1, s[0:1]
	v_lshl_or_b32 v4, v4, 9, v2
	v_cmp_eq_u32_e64 s[0:1], s10, v13
	s_nop 1
	v_cndmask_b32_e64 v4, v12, v4, s[0:1]
	v_and_or_b32 v12, v5, s11, v4
	ds_read2_b32 v[4:5], v45 offset0:150 offset1:225
	v_lshl_or_b32 v10, v12, 16, v10
	s_mul_i32 s0, s5, 0x4b
	s_mul_hi_u32 s1, s4, 0x4b
	s_add_i32 s1, s1, s0
	s_waitcnt lgkmcnt(0)
	v_lshrrev_b32_e32 v12, 16, v4
	v_mul_f16_sdwa v11, v98, v12 dst_sel:DWORD dst_unused:UNUSED_PAD src0_sel:WORD_1 src1_sel:DWORD
	v_fma_f16 v11, v98, v4, v11
	v_cvt_f32_f16_e32 v11, v11
	s_mul_i32 s0, s4, 0x4b
	s_lshl_b64 s[8:9], s[0:1], 2
	v_lshl_add_u64 v[0:1], v[0:1], 0, s[8:9]
	global_store_dword v[0:1], v10, off
	v_cvt_f64_f32_e32 v[10:11], v11
	v_mul_f64 v[10:11], v[10:11], s[6:7]
	v_and_or_b32 v10, v11, s14, v10
	v_cmp_ne_u32_e64 s[0:1], 0, v10
	v_lshrrev_b32_e32 v13, 8, v11
	v_bfe_u32 v14, v11, 20, 11
	v_cndmask_b32_e64 v10, 0, 1, s[0:1]
	v_and_or_b32 v10, v13, s12, v10
	v_sub_u32_e32 v15, 0x3f1, v14
	v_or_b32_e32 v13, 0x1000, v10
	v_med3_i32 v15, v15, 0, 13
	v_lshrrev_b32_e32 v16, v15, v13
	v_lshlrev_b32_e32 v15, v15, v16
	v_cmp_ne_u32_e64 s[0:1], v15, v13
	v_add_u32_e32 v14, 0xfffffc10, v14
	v_lshl_or_b32 v15, v14, 12, v10
	v_cndmask_b32_e64 v13, 0, 1, s[0:1]
	v_or_b32_e32 v13, v16, v13
	v_cmp_gt_i32_e64 s[0:1], 1, v14
	v_mul_f16_sdwa v4, v98, v4 dst_sel:DWORD dst_unused:UNUSED_PAD src0_sel:WORD_1 src1_sel:DWORD
	v_fma_f16 v4, v98, v12, -v4
	v_cndmask_b32_e64 v13, v15, v13, s[0:1]
	v_and_b32_e32 v15, 7, v13
	v_cmp_lt_i32_e64 s[0:1], 5, v15
	v_cmp_eq_u32_e64 s[2:3], 3, v15
	v_lshrrev_b32_e32 v13, 2, v13
	s_or_b64 s[0:1], s[2:3], s[0:1]
	v_addc_co_u32_e64 v13, s[0:1], 0, v13, s[0:1]
	v_cmp_gt_i32_e64 s[0:1], 31, v14
	v_cvt_f32_f16_e32 v4, v4
	v_lshl_add_u64 v[0:1], v[0:1], 0, s[8:9]
	v_cndmask_b32_e64 v13, v2, v13, s[0:1]
	v_cmp_ne_u32_e64 s[0:1], 0, v10
	s_nop 1
	v_cndmask_b32_e64 v10, 0, 1, s[0:1]
	v_lshl_or_b32 v10, v10, 9, v2
	v_cmp_eq_u32_e64 s[0:1], s10, v14
	s_nop 1
	v_cndmask_b32_e64 v12, v13, v10, s[0:1]
	v_and_b32_sdwa v13, v11, s11 dst_sel:DWORD dst_unused:UNUSED_PAD src0_sel:WORD_1 src1_sel:DWORD
	v_cvt_f64_f32_e32 v[10:11], v4
	v_mul_f64 v[10:11], v[10:11], s[6:7]
	v_and_or_b32 v4, v11, s14, v10
	v_cmp_ne_u32_e64 s[0:1], 0, v4
	v_lshrrev_b32_e32 v10, 8, v11
	v_bfe_u32 v14, v11, 20, 11
	v_cndmask_b32_e64 v4, 0, 1, s[0:1]
	v_and_or_b32 v4, v10, s12, v4
	v_sub_u32_e32 v15, 0x3f1, v14
	v_or_b32_e32 v10, 0x1000, v4
	v_med3_i32 v15, v15, 0, 13
	v_lshrrev_b32_e32 v16, v15, v10
	v_lshlrev_b32_e32 v15, v15, v16
	v_cmp_ne_u32_e64 s[0:1], v15, v10
	v_add_u32_e32 v14, 0xfffffc10, v14
	v_lshl_or_b32 v15, v14, 12, v4
	v_cndmask_b32_e64 v10, 0, 1, s[0:1]
	v_or_b32_e32 v10, v16, v10
	v_cmp_gt_i32_e64 s[0:1], 1, v14
	s_nop 1
	v_cndmask_b32_e64 v10, v15, v10, s[0:1]
	v_and_b32_e32 v15, 7, v10
	v_cmp_lt_i32_e64 s[0:1], 5, v15
	v_cmp_eq_u32_e64 s[2:3], 3, v15
	v_lshrrev_b32_e32 v10, 2, v10
	s_or_b64 s[0:1], s[2:3], s[0:1]
	v_addc_co_u32_e64 v10, s[0:1], 0, v10, s[0:1]
	v_cmp_gt_i32_e64 s[0:1], 31, v14
	s_nop 1
	v_cndmask_b32_e64 v10, v2, v10, s[0:1]
	v_cmp_ne_u32_e64 s[0:1], 0, v4
	s_nop 1
	v_cndmask_b32_e64 v4, 0, 1, s[0:1]
	v_lshl_or_b32 v4, v4, 9, v2
	v_cmp_eq_u32_e64 s[0:1], s10, v14
	s_nop 1
	v_cndmask_b32_e64 v4, v10, v4, s[0:1]
	v_lshrrev_b32_e32 v10, 16, v11
	v_and_or_b32 v4, v10, s11, v4
	v_bitop3_b32 v10, v13, s13, v12 bitop3:0xc8
	v_lshrrev_b32_e32 v12, 16, v5
	v_mul_f16_sdwa v11, v97, v12 dst_sel:DWORD dst_unused:UNUSED_PAD src0_sel:WORD_1 src1_sel:DWORD
	v_fma_f16 v11, v97, v5, v11
	v_cvt_f32_f16_e32 v11, v11
	v_lshl_or_b32 v4, v4, 16, v10
	global_store_dword v[0:1], v4, off
	v_mul_f16_sdwa v5, v97, v5 dst_sel:DWORD dst_unused:UNUSED_PAD src0_sel:WORD_1 src1_sel:DWORD
	v_cvt_f64_f32_e32 v[10:11], v11
	v_mul_f64 v[10:11], v[10:11], s[6:7]
	v_and_or_b32 v4, v11, s14, v10
	v_cmp_ne_u32_e64 s[0:1], 0, v4
	v_lshrrev_b32_e32 v10, 8, v11
	v_bfe_u32 v13, v11, 20, 11
	v_cndmask_b32_e64 v4, 0, 1, s[0:1]
	v_and_or_b32 v4, v10, s12, v4
	v_sub_u32_e32 v14, 0x3f1, v13
	v_or_b32_e32 v10, 0x1000, v4
	v_med3_i32 v14, v14, 0, 13
	v_lshrrev_b32_e32 v15, v14, v10
	v_lshlrev_b32_e32 v14, v14, v15
	v_cmp_ne_u32_e64 s[0:1], v14, v10
	v_add_u32_e32 v13, 0xfffffc10, v13
	v_lshl_or_b32 v14, v13, 12, v4
	v_cndmask_b32_e64 v10, 0, 1, s[0:1]
	v_or_b32_e32 v10, v15, v10
	v_cmp_gt_i32_e64 s[0:1], 1, v13
	v_fma_f16 v5, v97, v12, -v5
	v_cvt_f32_f16_e32 v5, v5
	v_cndmask_b32_e64 v10, v14, v10, s[0:1]
	v_and_b32_e32 v14, 7, v10
	v_cmp_lt_i32_e64 s[0:1], 5, v14
	v_cmp_eq_u32_e64 s[2:3], 3, v14
	v_lshrrev_b32_e32 v10, 2, v10
	s_or_b64 s[0:1], s[2:3], s[0:1]
	v_addc_co_u32_e64 v10, s[0:1], 0, v10, s[0:1]
	v_cmp_gt_i32_e64 s[0:1], 31, v13
	v_lshl_add_u64 v[0:1], v[0:1], 0, s[8:9]
	s_nop 0
	v_cndmask_b32_e64 v10, v2, v10, s[0:1]
	v_cmp_ne_u32_e64 s[0:1], 0, v4
	s_nop 1
	v_cndmask_b32_e64 v4, 0, 1, s[0:1]
	v_lshl_or_b32 v4, v4, 9, v2
	v_cmp_eq_u32_e64 s[0:1], s10, v13
	v_and_b32_sdwa v13, v11, s11 dst_sel:DWORD dst_unused:UNUSED_PAD src0_sel:WORD_1 src1_sel:DWORD
	s_nop 0
	v_cndmask_b32_e64 v12, v10, v4, s[0:1]
	v_cvt_f64_f32_e32 v[4:5], v5
	v_mul_f64 v[4:5], v[4:5], s[6:7]
	v_and_or_b32 v4, v5, s14, v4
	v_cmp_ne_u32_e64 s[0:1], 0, v4
	v_lshrrev_b32_e32 v10, 8, v5
	v_bfe_u32 v11, v5, 20, 11
	v_cndmask_b32_e64 v4, 0, 1, s[0:1]
	v_and_or_b32 v4, v10, s12, v4
	v_sub_u32_e32 v14, 0x3f1, v11
	v_or_b32_e32 v10, 0x1000, v4
	v_med3_i32 v14, v14, 0, 13
	v_lshrrev_b32_e32 v15, v14, v10
	v_lshlrev_b32_e32 v14, v14, v15
	v_cmp_ne_u32_e64 s[0:1], v14, v10
	v_add_u32_e32 v14, 0xfffffc10, v11
	v_lshl_or_b32 v11, v14, 12, v4
	v_cndmask_b32_e64 v10, 0, 1, s[0:1]
	v_or_b32_e32 v10, v15, v10
	v_cmp_gt_i32_e64 s[0:1], 1, v14
	v_lshrrev_b32_e32 v5, 16, v5
	s_nop 0
	v_cndmask_b32_e64 v10, v11, v10, s[0:1]
	v_and_b32_e32 v11, 7, v10
	v_cmp_lt_i32_e64 s[0:1], 5, v11
	v_cmp_eq_u32_e64 s[2:3], 3, v11
	v_lshrrev_b32_e32 v10, 2, v10
	s_or_b64 s[0:1], s[2:3], s[0:1]
	v_addc_co_u32_e64 v10, s[0:1], 0, v10, s[0:1]
	v_cmp_gt_i32_e64 s[0:1], 31, v14
	s_nop 1
	v_cndmask_b32_e64 v15, v2, v10, s[0:1]
	ds_read2_b32 v[10:11], v8 offset0:44 offset1:119
	v_cmp_ne_u32_e64 s[0:1], 0, v4
	s_nop 1
	v_cndmask_b32_e64 v4, 0, 1, s[0:1]
	v_lshl_or_b32 v4, v4, 9, v2
	v_cmp_eq_u32_e64 s[0:1], s10, v14
	s_nop 1
	v_cndmask_b32_e64 v4, v15, v4, s[0:1]
	v_and_or_b32 v4, v5, s11, v4
	v_bitop3_b32 v5, v13, s13, v12 bitop3:0xc8
	s_waitcnt lgkmcnt(0)
	v_lshrrev_b32_e32 v12, 16, v10
	v_mul_f16_sdwa v13, v96, v12 dst_sel:DWORD dst_unused:UNUSED_PAD src0_sel:WORD_1 src1_sel:DWORD
	v_fma_f16 v13, v96, v10, v13
	v_cvt_f32_f16_e32 v13, v13
	v_lshl_or_b32 v4, v4, 16, v5
	global_store_dword v[0:1], v4, off
	v_mul_f16_sdwa v10, v96, v10 dst_sel:DWORD dst_unused:UNUSED_PAD src0_sel:WORD_1 src1_sel:DWORD
	v_cvt_f64_f32_e32 v[4:5], v13
	v_mul_f64 v[4:5], v[4:5], s[6:7]
	v_and_or_b32 v4, v5, s14, v4
	v_cmp_ne_u32_e64 s[0:1], 0, v4
	v_lshrrev_b32_e32 v13, 8, v5
	v_bfe_u32 v14, v5, 20, 11
	v_cndmask_b32_e64 v4, 0, 1, s[0:1]
	v_and_or_b32 v4, v13, s12, v4
	v_sub_u32_e32 v15, 0x3f1, v14
	v_or_b32_e32 v13, 0x1000, v4
	v_med3_i32 v15, v15, 0, 13
	v_lshrrev_b32_e32 v16, v15, v13
	v_lshlrev_b32_e32 v15, v15, v16
	v_cmp_ne_u32_e64 s[0:1], v15, v13
	v_add_u32_e32 v14, 0xfffffc10, v14
	v_lshl_or_b32 v15, v14, 12, v4
	v_cndmask_b32_e64 v13, 0, 1, s[0:1]
	v_or_b32_e32 v13, v16, v13
	v_cmp_gt_i32_e64 s[0:1], 1, v14
	v_fma_f16 v10, v96, v12, -v10
	v_cvt_f32_f16_e32 v10, v10
	v_cndmask_b32_e64 v13, v15, v13, s[0:1]
	v_and_b32_e32 v15, 7, v13
	v_cmp_lt_i32_e64 s[0:1], 5, v15
	v_cmp_eq_u32_e64 s[2:3], 3, v15
	v_lshrrev_b32_e32 v13, 2, v13
	s_or_b64 s[0:1], s[2:3], s[0:1]
	v_addc_co_u32_e64 v13, s[0:1], 0, v13, s[0:1]
	v_cmp_gt_i32_e64 s[0:1], 31, v14
	v_lshl_add_u64 v[0:1], v[0:1], 0, s[8:9]
	s_nop 0
	v_cndmask_b32_e64 v13, v2, v13, s[0:1]
	v_cmp_ne_u32_e64 s[0:1], 0, v4
	s_nop 1
	v_cndmask_b32_e64 v4, 0, 1, s[0:1]
	v_lshl_or_b32 v4, v4, 9, v2
	v_cmp_eq_u32_e64 s[0:1], s10, v14
	s_nop 1
	v_cndmask_b32_e64 v12, v13, v4, s[0:1]
	v_and_b32_sdwa v13, v5, s11 dst_sel:DWORD dst_unused:UNUSED_PAD src0_sel:WORD_1 src1_sel:DWORD
	v_cvt_f64_f32_e32 v[4:5], v10
	v_mul_f64 v[4:5], v[4:5], s[6:7]
	v_and_or_b32 v4, v5, s14, v4
	v_cmp_ne_u32_e64 s[0:1], 0, v4
	v_lshrrev_b32_e32 v10, 8, v5
	v_bfe_u32 v14, v5, 20, 11
	v_cndmask_b32_e64 v4, 0, 1, s[0:1]
	v_and_or_b32 v4, v10, s12, v4
	v_sub_u32_e32 v15, 0x3f1, v14
	v_or_b32_e32 v10, 0x1000, v4
	v_med3_i32 v15, v15, 0, 13
	v_lshrrev_b32_e32 v16, v15, v10
	v_lshlrev_b32_e32 v15, v15, v16
	v_cmp_ne_u32_e64 s[0:1], v15, v10
	v_add_u32_e32 v14, 0xfffffc10, v14
	v_lshl_or_b32 v15, v14, 12, v4
	v_cndmask_b32_e64 v10, 0, 1, s[0:1]
	v_or_b32_e32 v10, v16, v10
	v_cmp_gt_i32_e64 s[0:1], 1, v14
	v_lshrrev_b32_e32 v5, 16, v5
	s_nop 0
	v_cndmask_b32_e64 v10, v15, v10, s[0:1]
	v_and_b32_e32 v15, 7, v10
	v_cmp_lt_i32_e64 s[0:1], 5, v15
	v_cmp_eq_u32_e64 s[2:3], 3, v15
	v_lshrrev_b32_e32 v10, 2, v10
	s_or_b64 s[0:1], s[2:3], s[0:1]
	v_addc_co_u32_e64 v10, s[0:1], 0, v10, s[0:1]
	v_cmp_gt_i32_e64 s[0:1], 31, v14
	s_nop 1
	v_cndmask_b32_e64 v10, v2, v10, s[0:1]
	v_cmp_ne_u32_e64 s[0:1], 0, v4
	s_nop 1
	v_cndmask_b32_e64 v4, 0, 1, s[0:1]
	v_lshl_or_b32 v4, v4, 9, v2
	v_cmp_eq_u32_e64 s[0:1], s10, v14
	s_nop 1
	v_cndmask_b32_e64 v4, v10, v4, s[0:1]
	v_lshrrev_b32_e32 v10, 16, v11
	v_and_or_b32 v4, v5, s11, v4
	v_bitop3_b32 v5, v13, s13, v12 bitop3:0xc8
	v_mul_f16_sdwa v12, v95, v10 dst_sel:DWORD dst_unused:UNUSED_PAD src0_sel:WORD_1 src1_sel:DWORD
	v_fma_f16 v12, v95, v11, v12
	v_cvt_f32_f16_e32 v12, v12
	v_lshl_or_b32 v4, v4, 16, v5
	global_store_dword v[0:1], v4, off
	v_mul_f16_sdwa v11, v95, v11 dst_sel:DWORD dst_unused:UNUSED_PAD src0_sel:WORD_1 src1_sel:DWORD
	v_cvt_f64_f32_e32 v[4:5], v12
	v_mul_f64 v[4:5], v[4:5], s[6:7]
	v_and_or_b32 v4, v5, s14, v4
	v_cmp_ne_u32_e64 s[0:1], 0, v4
	v_lshrrev_b32_e32 v12, 8, v5
	v_bfe_u32 v13, v5, 20, 11
	v_cndmask_b32_e64 v4, 0, 1, s[0:1]
	v_and_or_b32 v4, v12, s12, v4
	v_sub_u32_e32 v14, 0x3f1, v13
	v_or_b32_e32 v12, 0x1000, v4
	v_med3_i32 v14, v14, 0, 13
	v_lshrrev_b32_e32 v15, v14, v12
	v_lshlrev_b32_e32 v14, v14, v15
	v_cmp_ne_u32_e64 s[0:1], v14, v12
	v_add_u32_e32 v13, 0xfffffc10, v13
	v_lshl_or_b32 v14, v13, 12, v4
	v_cndmask_b32_e64 v12, 0, 1, s[0:1]
	v_or_b32_e32 v12, v15, v12
	v_cmp_gt_i32_e64 s[0:1], 1, v13
	v_fma_f16 v10, v95, v10, -v11
	v_cvt_f32_f16_e32 v10, v10
	v_cndmask_b32_e64 v12, v14, v12, s[0:1]
	v_and_b32_e32 v14, 7, v12
	v_cmp_lt_i32_e64 s[0:1], 5, v14
	v_cmp_eq_u32_e64 s[2:3], 3, v14
	v_lshrrev_b32_e32 v12, 2, v12
	s_or_b64 s[0:1], s[2:3], s[0:1]
	v_addc_co_u32_e64 v12, s[0:1], 0, v12, s[0:1]
	v_cmp_gt_i32_e64 s[0:1], 31, v13
	v_lshl_add_u64 v[0:1], v[0:1], 0, s[8:9]
	s_nop 0
	v_cndmask_b32_e64 v12, v2, v12, s[0:1]
	v_cmp_ne_u32_e64 s[0:1], 0, v4
	s_nop 1
	v_cndmask_b32_e64 v4, 0, 1, s[0:1]
	v_lshl_or_b32 v4, v4, 9, v2
	v_cmp_eq_u32_e64 s[0:1], s10, v13
	v_and_b32_sdwa v13, v5, s11 dst_sel:DWORD dst_unused:UNUSED_PAD src0_sel:WORD_1 src1_sel:DWORD
	s_nop 0
	v_cndmask_b32_e64 v12, v12, v4, s[0:1]
	v_cvt_f64_f32_e32 v[4:5], v10
	v_mul_f64 v[4:5], v[4:5], s[6:7]
	v_and_or_b32 v4, v5, s14, v4
	v_cmp_ne_u32_e64 s[0:1], 0, v4
	v_lshrrev_b32_e32 v10, 8, v5
	v_bfe_u32 v11, v5, 20, 11
	v_cndmask_b32_e64 v4, 0, 1, s[0:1]
	v_and_or_b32 v4, v10, s12, v4
	v_sub_u32_e32 v14, 0x3f1, v11
	v_or_b32_e32 v10, 0x1000, v4
	v_med3_i32 v14, v14, 0, 13
	v_lshrrev_b32_e32 v15, v14, v10
	v_lshlrev_b32_e32 v14, v14, v15
	v_cmp_ne_u32_e64 s[0:1], v14, v10
	v_add_u32_e32 v14, 0xfffffc10, v11
	v_lshl_or_b32 v11, v14, 12, v4
	v_cndmask_b32_e64 v10, 0, 1, s[0:1]
	v_or_b32_e32 v10, v15, v10
	v_cmp_gt_i32_e64 s[0:1], 1, v14
	v_lshrrev_b32_e32 v5, 16, v5
	s_nop 0
	v_cndmask_b32_e64 v10, v11, v10, s[0:1]
	v_and_b32_e32 v11, 7, v10
	v_cmp_lt_i32_e64 s[0:1], 5, v11
	v_cmp_eq_u32_e64 s[2:3], 3, v11
	v_lshrrev_b32_e32 v10, 2, v10
	s_or_b64 s[0:1], s[2:3], s[0:1]
	v_addc_co_u32_e64 v10, s[0:1], 0, v10, s[0:1]
	v_cmp_gt_i32_e64 s[0:1], 31, v14
	s_nop 1
	v_cndmask_b32_e64 v15, v2, v10, s[0:1]
	ds_read2_b32 v[10:11], v3 offset0:66 offset1:141
	v_cmp_ne_u32_e64 s[0:1], 0, v4
	s_nop 1
	v_cndmask_b32_e64 v4, 0, 1, s[0:1]
	v_lshl_or_b32 v4, v4, 9, v2
	v_cmp_eq_u32_e64 s[0:1], s10, v14
	s_nop 1
	v_cndmask_b32_e64 v4, v15, v4, s[0:1]
	v_and_or_b32 v4, v5, s11, v4
	v_bitop3_b32 v5, v13, s13, v12 bitop3:0xc8
	s_waitcnt lgkmcnt(0)
	v_lshrrev_b32_e32 v12, 16, v10
	v_mul_f16_sdwa v13, v94, v12 dst_sel:DWORD dst_unused:UNUSED_PAD src0_sel:WORD_1 src1_sel:DWORD
	v_fma_f16 v13, v94, v10, v13
	v_cvt_f32_f16_e32 v13, v13
	v_lshl_or_b32 v4, v4, 16, v5
	global_store_dword v[0:1], v4, off
	v_mul_f16_sdwa v10, v94, v10 dst_sel:DWORD dst_unused:UNUSED_PAD src0_sel:WORD_1 src1_sel:DWORD
	v_cvt_f64_f32_e32 v[4:5], v13
	v_mul_f64 v[4:5], v[4:5], s[6:7]
	v_and_or_b32 v4, v5, s14, v4
	v_cmp_ne_u32_e64 s[0:1], 0, v4
	v_lshrrev_b32_e32 v13, 8, v5
	v_bfe_u32 v14, v5, 20, 11
	v_cndmask_b32_e64 v4, 0, 1, s[0:1]
	v_and_or_b32 v4, v13, s12, v4
	v_sub_u32_e32 v15, 0x3f1, v14
	v_or_b32_e32 v13, 0x1000, v4
	v_med3_i32 v15, v15, 0, 13
	v_lshrrev_b32_e32 v16, v15, v13
	v_lshlrev_b32_e32 v15, v15, v16
	v_cmp_ne_u32_e64 s[0:1], v15, v13
	v_add_u32_e32 v14, 0xfffffc10, v14
	v_lshl_or_b32 v15, v14, 12, v4
	v_cndmask_b32_e64 v13, 0, 1, s[0:1]
	v_or_b32_e32 v13, v16, v13
	v_cmp_gt_i32_e64 s[0:1], 1, v14
	v_fma_f16 v10, v94, v12, -v10
	v_cvt_f32_f16_e32 v10, v10
	v_cndmask_b32_e64 v13, v15, v13, s[0:1]
	v_and_b32_e32 v15, 7, v13
	v_cmp_lt_i32_e64 s[0:1], 5, v15
	v_cmp_eq_u32_e64 s[2:3], 3, v15
	v_lshrrev_b32_e32 v13, 2, v13
	s_or_b64 s[0:1], s[2:3], s[0:1]
	v_addc_co_u32_e64 v13, s[0:1], 0, v13, s[0:1]
	v_cmp_gt_i32_e64 s[0:1], 31, v14
	v_lshl_add_u64 v[0:1], v[0:1], 0, s[8:9]
	s_nop 0
	v_cndmask_b32_e64 v13, v2, v13, s[0:1]
	v_cmp_ne_u32_e64 s[0:1], 0, v4
	s_nop 1
	v_cndmask_b32_e64 v4, 0, 1, s[0:1]
	v_lshl_or_b32 v4, v4, 9, v2
	v_cmp_eq_u32_e64 s[0:1], s10, v14
	s_nop 1
	v_cndmask_b32_e64 v12, v13, v4, s[0:1]
	v_and_b32_sdwa v13, v5, s11 dst_sel:DWORD dst_unused:UNUSED_PAD src0_sel:WORD_1 src1_sel:DWORD
	v_cvt_f64_f32_e32 v[4:5], v10
	v_mul_f64 v[4:5], v[4:5], s[6:7]
	v_and_or_b32 v4, v5, s14, v4
	v_cmp_ne_u32_e64 s[0:1], 0, v4
	v_lshrrev_b32_e32 v10, 8, v5
	v_bfe_u32 v14, v5, 20, 11
	v_cndmask_b32_e64 v4, 0, 1, s[0:1]
	v_and_or_b32 v4, v10, s12, v4
	v_sub_u32_e32 v15, 0x3f1, v14
	v_or_b32_e32 v10, 0x1000, v4
	v_med3_i32 v15, v15, 0, 13
	v_lshrrev_b32_e32 v16, v15, v10
	v_lshlrev_b32_e32 v15, v15, v16
	v_cmp_ne_u32_e64 s[0:1], v15, v10
	v_add_u32_e32 v14, 0xfffffc10, v14
	v_lshl_or_b32 v15, v14, 12, v4
	v_cndmask_b32_e64 v10, 0, 1, s[0:1]
	v_or_b32_e32 v10, v16, v10
	v_cmp_gt_i32_e64 s[0:1], 1, v14
	v_lshrrev_b32_e32 v5, 16, v5
	s_nop 0
	v_cndmask_b32_e64 v10, v15, v10, s[0:1]
	v_and_b32_e32 v15, 7, v10
	v_cmp_lt_i32_e64 s[0:1], 5, v15
	v_cmp_eq_u32_e64 s[2:3], 3, v15
	v_lshrrev_b32_e32 v10, 2, v10
	s_or_b64 s[0:1], s[2:3], s[0:1]
	v_addc_co_u32_e64 v10, s[0:1], 0, v10, s[0:1]
	v_cmp_gt_i32_e64 s[0:1], 31, v14
	s_nop 1
	v_cndmask_b32_e64 v10, v2, v10, s[0:1]
	v_cmp_ne_u32_e64 s[0:1], 0, v4
	s_nop 1
	v_cndmask_b32_e64 v4, 0, 1, s[0:1]
	v_lshl_or_b32 v4, v4, 9, v2
	v_cmp_eq_u32_e64 s[0:1], s10, v14
	s_nop 1
	v_cndmask_b32_e64 v4, v10, v4, s[0:1]
	v_lshrrev_b32_e32 v10, 16, v11
	v_and_or_b32 v4, v5, s11, v4
	v_bitop3_b32 v5, v13, s13, v12 bitop3:0xc8
	v_mul_f16_sdwa v12, v93, v10 dst_sel:DWORD dst_unused:UNUSED_PAD src0_sel:WORD_1 src1_sel:DWORD
	v_fma_f16 v12, v93, v11, v12
	v_cvt_f32_f16_e32 v12, v12
	v_lshl_or_b32 v4, v4, 16, v5
	global_store_dword v[0:1], v4, off
	v_mul_f16_sdwa v11, v93, v11 dst_sel:DWORD dst_unused:UNUSED_PAD src0_sel:WORD_1 src1_sel:DWORD
	v_cvt_f64_f32_e32 v[4:5], v12
	v_mul_f64 v[4:5], v[4:5], s[6:7]
	v_and_or_b32 v4, v5, s14, v4
	v_cmp_ne_u32_e64 s[0:1], 0, v4
	v_lshrrev_b32_e32 v12, 8, v5
	v_bfe_u32 v13, v5, 20, 11
	v_cndmask_b32_e64 v4, 0, 1, s[0:1]
	v_and_or_b32 v4, v12, s12, v4
	v_sub_u32_e32 v14, 0x3f1, v13
	v_or_b32_e32 v12, 0x1000, v4
	v_med3_i32 v14, v14, 0, 13
	v_lshrrev_b32_e32 v15, v14, v12
	v_lshlrev_b32_e32 v14, v14, v15
	v_cmp_ne_u32_e64 s[0:1], v14, v12
	v_add_u32_e32 v13, 0xfffffc10, v13
	v_lshl_or_b32 v14, v13, 12, v4
	v_cndmask_b32_e64 v12, 0, 1, s[0:1]
	v_or_b32_e32 v12, v15, v12
	v_cmp_gt_i32_e64 s[0:1], 1, v13
	v_fma_f16 v10, v93, v10, -v11
	v_cvt_f32_f16_e32 v10, v10
	v_cndmask_b32_e64 v12, v14, v12, s[0:1]
	v_and_b32_e32 v14, 7, v12
	v_cmp_lt_i32_e64 s[0:1], 5, v14
	v_cmp_eq_u32_e64 s[2:3], 3, v14
	v_lshrrev_b32_e32 v12, 2, v12
	s_or_b64 s[0:1], s[2:3], s[0:1]
	v_addc_co_u32_e64 v12, s[0:1], 0, v12, s[0:1]
	v_cmp_gt_i32_e64 s[0:1], 31, v13
	v_lshl_add_u64 v[0:1], v[0:1], 0, s[8:9]
	s_nop 0
	v_cndmask_b32_e64 v12, v2, v12, s[0:1]
	v_cmp_ne_u32_e64 s[0:1], 0, v4
	s_nop 1
	v_cndmask_b32_e64 v4, 0, 1, s[0:1]
	v_lshl_or_b32 v4, v4, 9, v2
	v_cmp_eq_u32_e64 s[0:1], s10, v13
	v_and_b32_sdwa v13, v5, s11 dst_sel:DWORD dst_unused:UNUSED_PAD src0_sel:WORD_1 src1_sel:DWORD
	s_nop 0
	v_cndmask_b32_e64 v12, v12, v4, s[0:1]
	v_cvt_f64_f32_e32 v[4:5], v10
	v_mul_f64 v[4:5], v[4:5], s[6:7]
	v_and_or_b32 v4, v5, s14, v4
	v_cmp_ne_u32_e64 s[0:1], 0, v4
	v_lshrrev_b32_e32 v10, 8, v5
	v_bfe_u32 v11, v5, 20, 11
	v_cndmask_b32_e64 v4, 0, 1, s[0:1]
	v_and_or_b32 v4, v10, s12, v4
	v_sub_u32_e32 v14, 0x3f1, v11
	v_or_b32_e32 v10, 0x1000, v4
	v_med3_i32 v14, v14, 0, 13
	v_lshrrev_b32_e32 v15, v14, v10
	v_lshlrev_b32_e32 v14, v14, v15
	v_cmp_ne_u32_e64 s[0:1], v14, v10
	v_add_u32_e32 v14, 0xfffffc10, v11
	v_lshl_or_b32 v11, v14, 12, v4
	v_cndmask_b32_e64 v10, 0, 1, s[0:1]
	v_or_b32_e32 v10, v15, v10
	v_cmp_gt_i32_e64 s[0:1], 1, v14
	v_lshrrev_b32_e32 v5, 16, v5
	s_nop 0
	v_cndmask_b32_e64 v10, v11, v10, s[0:1]
	v_and_b32_e32 v11, 7, v10
	v_cmp_lt_i32_e64 s[0:1], 5, v11
	v_cmp_eq_u32_e64 s[2:3], 3, v11
	v_lshrrev_b32_e32 v10, 2, v10
	s_or_b64 s[0:1], s[2:3], s[0:1]
	v_addc_co_u32_e64 v10, s[0:1], 0, v10, s[0:1]
	v_cmp_gt_i32_e64 s[0:1], 31, v14
	s_nop 1
	v_cndmask_b32_e64 v15, v2, v10, s[0:1]
	ds_read2_b32 v[10:11], v7 offset0:88 offset1:163
	v_cmp_ne_u32_e64 s[0:1], 0, v4
	s_nop 1
	v_cndmask_b32_e64 v4, 0, 1, s[0:1]
	v_lshl_or_b32 v4, v4, 9, v2
	v_cmp_eq_u32_e64 s[0:1], s10, v14
	s_nop 1
	v_cndmask_b32_e64 v4, v15, v4, s[0:1]
	v_and_or_b32 v4, v5, s11, v4
	v_bitop3_b32 v5, v13, s13, v12 bitop3:0xc8
	s_waitcnt lgkmcnt(0)
	v_lshrrev_b32_e32 v12, 16, v10
	v_mul_f16_sdwa v13, v92, v12 dst_sel:DWORD dst_unused:UNUSED_PAD src0_sel:WORD_1 src1_sel:DWORD
	v_fma_f16 v13, v92, v10, v13
	v_cvt_f32_f16_e32 v13, v13
	v_lshl_or_b32 v4, v4, 16, v5
	global_store_dword v[0:1], v4, off
	v_mul_f16_sdwa v10, v92, v10 dst_sel:DWORD dst_unused:UNUSED_PAD src0_sel:WORD_1 src1_sel:DWORD
	v_cvt_f64_f32_e32 v[4:5], v13
	v_mul_f64 v[4:5], v[4:5], s[6:7]
	v_and_or_b32 v4, v5, s14, v4
	v_cmp_ne_u32_e64 s[0:1], 0, v4
	v_lshrrev_b32_e32 v13, 8, v5
	v_bfe_u32 v14, v5, 20, 11
	v_cndmask_b32_e64 v4, 0, 1, s[0:1]
	v_and_or_b32 v4, v13, s12, v4
	v_sub_u32_e32 v15, 0x3f1, v14
	v_or_b32_e32 v13, 0x1000, v4
	v_med3_i32 v15, v15, 0, 13
	v_lshrrev_b32_e32 v16, v15, v13
	v_lshlrev_b32_e32 v15, v15, v16
	v_cmp_ne_u32_e64 s[0:1], v15, v13
	v_add_u32_e32 v14, 0xfffffc10, v14
	v_lshl_or_b32 v15, v14, 12, v4
	v_cndmask_b32_e64 v13, 0, 1, s[0:1]
	v_or_b32_e32 v13, v16, v13
	v_cmp_gt_i32_e64 s[0:1], 1, v14
	v_fma_f16 v10, v92, v12, -v10
	v_cvt_f32_f16_e32 v10, v10
	v_cndmask_b32_e64 v13, v15, v13, s[0:1]
	v_and_b32_e32 v15, 7, v13
	v_cmp_lt_i32_e64 s[0:1], 5, v15
	v_cmp_eq_u32_e64 s[2:3], 3, v15
	v_lshrrev_b32_e32 v13, 2, v13
	s_or_b64 s[0:1], s[2:3], s[0:1]
	v_addc_co_u32_e64 v13, s[0:1], 0, v13, s[0:1]
	v_cmp_gt_i32_e64 s[0:1], 31, v14
	v_lshl_add_u64 v[0:1], v[0:1], 0, s[8:9]
	s_nop 0
	v_cndmask_b32_e64 v13, v2, v13, s[0:1]
	v_cmp_ne_u32_e64 s[0:1], 0, v4
	s_nop 1
	v_cndmask_b32_e64 v4, 0, 1, s[0:1]
	v_lshl_or_b32 v4, v4, 9, v2
	v_cmp_eq_u32_e64 s[0:1], s10, v14
	s_nop 1
	v_cndmask_b32_e64 v12, v13, v4, s[0:1]
	v_and_b32_sdwa v13, v5, s11 dst_sel:DWORD dst_unused:UNUSED_PAD src0_sel:WORD_1 src1_sel:DWORD
	v_cvt_f64_f32_e32 v[4:5], v10
	v_mul_f64 v[4:5], v[4:5], s[6:7]
	v_and_or_b32 v4, v5, s14, v4
	v_cmp_ne_u32_e64 s[0:1], 0, v4
	v_lshrrev_b32_e32 v10, 8, v5
	v_bfe_u32 v14, v5, 20, 11
	v_cndmask_b32_e64 v4, 0, 1, s[0:1]
	v_and_or_b32 v4, v10, s12, v4
	v_sub_u32_e32 v15, 0x3f1, v14
	v_or_b32_e32 v10, 0x1000, v4
	v_med3_i32 v15, v15, 0, 13
	v_lshrrev_b32_e32 v16, v15, v10
	v_lshlrev_b32_e32 v15, v15, v16
	v_cmp_ne_u32_e64 s[0:1], v15, v10
	v_add_u32_e32 v14, 0xfffffc10, v14
	v_lshl_or_b32 v15, v14, 12, v4
	v_cndmask_b32_e64 v10, 0, 1, s[0:1]
	v_or_b32_e32 v10, v16, v10
	v_cmp_gt_i32_e64 s[0:1], 1, v14
	v_lshrrev_b32_e32 v5, 16, v5
	s_nop 0
	v_cndmask_b32_e64 v10, v15, v10, s[0:1]
	v_and_b32_e32 v15, 7, v10
	v_cmp_lt_i32_e64 s[0:1], 5, v15
	v_cmp_eq_u32_e64 s[2:3], 3, v15
	v_lshrrev_b32_e32 v10, 2, v10
	s_or_b64 s[0:1], s[2:3], s[0:1]
	v_addc_co_u32_e64 v10, s[0:1], 0, v10, s[0:1]
	v_cmp_gt_i32_e64 s[0:1], 31, v14
	s_nop 1
	v_cndmask_b32_e64 v10, v2, v10, s[0:1]
	v_cmp_ne_u32_e64 s[0:1], 0, v4
	s_nop 1
	v_cndmask_b32_e64 v4, 0, 1, s[0:1]
	v_lshl_or_b32 v4, v4, 9, v2
	v_cmp_eq_u32_e64 s[0:1], s10, v14
	s_nop 1
	v_cndmask_b32_e64 v4, v10, v4, s[0:1]
	v_lshrrev_b32_e32 v10, 16, v11
	v_and_or_b32 v4, v5, s11, v4
	v_bitop3_b32 v5, v13, s13, v12 bitop3:0xc8
	v_mul_f16_sdwa v12, v91, v10 dst_sel:DWORD dst_unused:UNUSED_PAD src0_sel:WORD_1 src1_sel:DWORD
	v_fma_f16 v12, v91, v11, v12
	v_cvt_f32_f16_e32 v12, v12
	v_lshl_or_b32 v4, v4, 16, v5
	global_store_dword v[0:1], v4, off
	v_mul_f16_sdwa v11, v91, v11 dst_sel:DWORD dst_unused:UNUSED_PAD src0_sel:WORD_1 src1_sel:DWORD
	v_cvt_f64_f32_e32 v[4:5], v12
	v_mul_f64 v[4:5], v[4:5], s[6:7]
	v_and_or_b32 v4, v5, s14, v4
	v_cmp_ne_u32_e64 s[0:1], 0, v4
	v_lshrrev_b32_e32 v12, 8, v5
	v_bfe_u32 v13, v5, 20, 11
	v_cndmask_b32_e64 v4, 0, 1, s[0:1]
	v_and_or_b32 v4, v12, s12, v4
	v_sub_u32_e32 v14, 0x3f1, v13
	v_or_b32_e32 v12, 0x1000, v4
	v_med3_i32 v14, v14, 0, 13
	v_lshrrev_b32_e32 v15, v14, v12
	v_lshlrev_b32_e32 v14, v14, v15
	v_cmp_ne_u32_e64 s[0:1], v14, v12
	v_add_u32_e32 v13, 0xfffffc10, v13
	v_lshl_or_b32 v14, v13, 12, v4
	v_cndmask_b32_e64 v12, 0, 1, s[0:1]
	v_or_b32_e32 v12, v15, v12
	v_cmp_gt_i32_e64 s[0:1], 1, v13
	v_fma_f16 v10, v91, v10, -v11
	v_cvt_f32_f16_e32 v10, v10
	v_cndmask_b32_e64 v12, v14, v12, s[0:1]
	v_and_b32_e32 v14, 7, v12
	v_cmp_lt_i32_e64 s[0:1], 5, v14
	v_cmp_eq_u32_e64 s[2:3], 3, v14
	v_lshrrev_b32_e32 v12, 2, v12
	s_or_b64 s[0:1], s[2:3], s[0:1]
	v_addc_co_u32_e64 v12, s[0:1], 0, v12, s[0:1]
	v_cmp_gt_i32_e64 s[0:1], 31, v13
	v_lshl_add_u64 v[0:1], v[0:1], 0, s[8:9]
	s_nop 0
	v_cndmask_b32_e64 v12, v2, v12, s[0:1]
	v_cmp_ne_u32_e64 s[0:1], 0, v4
	s_nop 1
	v_cndmask_b32_e64 v4, 0, 1, s[0:1]
	v_lshl_or_b32 v4, v4, 9, v2
	v_cmp_eq_u32_e64 s[0:1], s10, v13
	v_and_b32_sdwa v13, v5, s11 dst_sel:DWORD dst_unused:UNUSED_PAD src0_sel:WORD_1 src1_sel:DWORD
	s_nop 0
	v_cndmask_b32_e64 v12, v12, v4, s[0:1]
	v_cvt_f64_f32_e32 v[4:5], v10
	v_mul_f64 v[4:5], v[4:5], s[6:7]
	v_and_or_b32 v4, v5, s14, v4
	v_cmp_ne_u32_e64 s[0:1], 0, v4
	v_lshrrev_b32_e32 v10, 8, v5
	v_bfe_u32 v11, v5, 20, 11
	v_cndmask_b32_e64 v4, 0, 1, s[0:1]
	v_and_or_b32 v4, v10, s12, v4
	v_sub_u32_e32 v14, 0x3f1, v11
	v_or_b32_e32 v10, 0x1000, v4
	v_med3_i32 v14, v14, 0, 13
	v_lshrrev_b32_e32 v15, v14, v10
	v_lshlrev_b32_e32 v14, v14, v15
	v_cmp_ne_u32_e64 s[0:1], v14, v10
	v_add_u32_e32 v14, 0xfffffc10, v11
	v_lshl_or_b32 v11, v14, 12, v4
	v_cndmask_b32_e64 v10, 0, 1, s[0:1]
	v_or_b32_e32 v10, v15, v10
	v_cmp_gt_i32_e64 s[0:1], 1, v14
	v_lshrrev_b32_e32 v5, 16, v5
	s_nop 0
	v_cndmask_b32_e64 v10, v11, v10, s[0:1]
	v_and_b32_e32 v11, 7, v10
	v_cmp_lt_i32_e64 s[0:1], 5, v11
	v_cmp_eq_u32_e64 s[2:3], 3, v11
	v_lshrrev_b32_e32 v10, 2, v10
	s_or_b64 s[0:1], s[2:3], s[0:1]
	v_addc_co_u32_e64 v10, s[0:1], 0, v10, s[0:1]
	v_cmp_gt_i32_e64 s[0:1], 31, v14
	s_nop 1
	v_cndmask_b32_e64 v15, v2, v10, s[0:1]
	v_add_u32_e32 v10, 0xa00, v45
	ds_read2_b32 v[10:11], v10 offset0:110 offset1:185
	v_cmp_ne_u32_e64 s[0:1], 0, v4
	s_nop 1
	v_cndmask_b32_e64 v4, 0, 1, s[0:1]
	v_lshl_or_b32 v4, v4, 9, v2
	v_cmp_eq_u32_e64 s[0:1], s10, v14
	s_nop 1
	v_cndmask_b32_e64 v4, v15, v4, s[0:1]
	v_and_or_b32 v4, v5, s11, v4
	v_bitop3_b32 v5, v13, s13, v12 bitop3:0xc8
	s_waitcnt lgkmcnt(0)
	v_lshrrev_b32_e32 v12, 16, v10
	v_mul_f16_sdwa v13, v90, v12 dst_sel:DWORD dst_unused:UNUSED_PAD src0_sel:WORD_1 src1_sel:DWORD
	v_fma_f16 v13, v90, v10, v13
	v_cvt_f32_f16_e32 v13, v13
	v_lshl_or_b32 v4, v4, 16, v5
	global_store_dword v[0:1], v4, off
	v_mul_f16_sdwa v10, v90, v10 dst_sel:DWORD dst_unused:UNUSED_PAD src0_sel:WORD_1 src1_sel:DWORD
	v_cvt_f64_f32_e32 v[4:5], v13
	v_mul_f64 v[4:5], v[4:5], s[6:7]
	v_and_or_b32 v4, v5, s14, v4
	v_cmp_ne_u32_e64 s[0:1], 0, v4
	v_lshrrev_b32_e32 v13, 8, v5
	v_bfe_u32 v14, v5, 20, 11
	v_cndmask_b32_e64 v4, 0, 1, s[0:1]
	v_and_or_b32 v4, v13, s12, v4
	v_sub_u32_e32 v15, 0x3f1, v14
	v_or_b32_e32 v13, 0x1000, v4
	v_med3_i32 v15, v15, 0, 13
	v_lshrrev_b32_e32 v16, v15, v13
	v_lshlrev_b32_e32 v15, v15, v16
	v_cmp_ne_u32_e64 s[0:1], v15, v13
	v_add_u32_e32 v14, 0xfffffc10, v14
	v_lshl_or_b32 v15, v14, 12, v4
	v_cndmask_b32_e64 v13, 0, 1, s[0:1]
	v_or_b32_e32 v13, v16, v13
	v_cmp_gt_i32_e64 s[0:1], 1, v14
	v_fma_f16 v10, v90, v12, -v10
	v_cvt_f32_f16_e32 v10, v10
	v_cndmask_b32_e64 v13, v15, v13, s[0:1]
	v_and_b32_e32 v15, 7, v13
	v_cmp_lt_i32_e64 s[0:1], 5, v15
	v_cmp_eq_u32_e64 s[2:3], 3, v15
	v_lshrrev_b32_e32 v13, 2, v13
	s_or_b64 s[0:1], s[2:3], s[0:1]
	v_addc_co_u32_e64 v13, s[0:1], 0, v13, s[0:1]
	v_cmp_gt_i32_e64 s[0:1], 31, v14
	v_lshl_add_u64 v[0:1], v[0:1], 0, s[8:9]
	s_nop 0
	v_cndmask_b32_e64 v13, v2, v13, s[0:1]
	v_cmp_ne_u32_e64 s[0:1], 0, v4
	s_nop 1
	v_cndmask_b32_e64 v4, 0, 1, s[0:1]
	v_lshl_or_b32 v4, v4, 9, v2
	v_cmp_eq_u32_e64 s[0:1], s10, v14
	s_nop 1
	v_cndmask_b32_e64 v12, v13, v4, s[0:1]
	v_and_b32_sdwa v13, v5, s11 dst_sel:DWORD dst_unused:UNUSED_PAD src0_sel:WORD_1 src1_sel:DWORD
	v_cvt_f64_f32_e32 v[4:5], v10
	v_mul_f64 v[4:5], v[4:5], s[6:7]
	v_and_or_b32 v4, v5, s14, v4
	v_cmp_ne_u32_e64 s[0:1], 0, v4
	v_lshrrev_b32_e32 v10, 8, v5
	v_bfe_u32 v14, v5, 20, 11
	v_cndmask_b32_e64 v4, 0, 1, s[0:1]
	v_and_or_b32 v4, v10, s12, v4
	v_sub_u32_e32 v15, 0x3f1, v14
	v_or_b32_e32 v10, 0x1000, v4
	v_med3_i32 v15, v15, 0, 13
	v_lshrrev_b32_e32 v16, v15, v10
	v_lshlrev_b32_e32 v15, v15, v16
	v_cmp_ne_u32_e64 s[0:1], v15, v10
	v_add_u32_e32 v14, 0xfffffc10, v14
	v_lshl_or_b32 v15, v14, 12, v4
	v_cndmask_b32_e64 v10, 0, 1, s[0:1]
	v_or_b32_e32 v10, v16, v10
	v_cmp_gt_i32_e64 s[0:1], 1, v14
	v_lshrrev_b32_e32 v5, 16, v5
	s_nop 0
	v_cndmask_b32_e64 v10, v15, v10, s[0:1]
	v_and_b32_e32 v15, 7, v10
	v_cmp_lt_i32_e64 s[0:1], 5, v15
	v_cmp_eq_u32_e64 s[2:3], 3, v15
	v_lshrrev_b32_e32 v10, 2, v10
	s_or_b64 s[0:1], s[2:3], s[0:1]
	v_addc_co_u32_e64 v10, s[0:1], 0, v10, s[0:1]
	v_cmp_gt_i32_e64 s[0:1], 31, v14
	s_nop 1
	v_cndmask_b32_e64 v10, v2, v10, s[0:1]
	v_cmp_ne_u32_e64 s[0:1], 0, v4
	s_nop 1
	v_cndmask_b32_e64 v4, 0, 1, s[0:1]
	v_lshl_or_b32 v4, v4, 9, v2
	v_cmp_eq_u32_e64 s[0:1], s10, v14
	s_nop 1
	v_cndmask_b32_e64 v4, v10, v4, s[0:1]
	v_lshrrev_b32_e32 v10, 16, v11
	v_and_or_b32 v4, v5, s11, v4
	v_bitop3_b32 v5, v13, s13, v12 bitop3:0xc8
	v_mul_f16_sdwa v12, v89, v10 dst_sel:DWORD dst_unused:UNUSED_PAD src0_sel:WORD_1 src1_sel:DWORD
	v_fma_f16 v12, v89, v11, v12
	v_cvt_f32_f16_e32 v12, v12
	v_lshl_or_b32 v4, v4, 16, v5
	global_store_dword v[0:1], v4, off
	v_mul_f16_sdwa v11, v89, v11 dst_sel:DWORD dst_unused:UNUSED_PAD src0_sel:WORD_1 src1_sel:DWORD
	v_cvt_f64_f32_e32 v[4:5], v12
	v_mul_f64 v[4:5], v[4:5], s[6:7]
	v_and_or_b32 v4, v5, s14, v4
	v_cmp_ne_u32_e64 s[0:1], 0, v4
	v_lshrrev_b32_e32 v12, 8, v5
	v_bfe_u32 v13, v5, 20, 11
	v_cndmask_b32_e64 v4, 0, 1, s[0:1]
	v_and_or_b32 v4, v12, s12, v4
	v_sub_u32_e32 v14, 0x3f1, v13
	v_or_b32_e32 v12, 0x1000, v4
	v_med3_i32 v14, v14, 0, 13
	v_lshrrev_b32_e32 v15, v14, v12
	v_lshlrev_b32_e32 v14, v14, v15
	v_cmp_ne_u32_e64 s[0:1], v14, v12
	v_add_u32_e32 v13, 0xfffffc10, v13
	v_lshl_or_b32 v14, v13, 12, v4
	v_cndmask_b32_e64 v12, 0, 1, s[0:1]
	v_or_b32_e32 v12, v15, v12
	v_cmp_gt_i32_e64 s[0:1], 1, v13
	v_fma_f16 v10, v89, v10, -v11
	v_cvt_f32_f16_e32 v10, v10
	v_cndmask_b32_e64 v12, v14, v12, s[0:1]
	v_and_b32_e32 v14, 7, v12
	v_cmp_lt_i32_e64 s[0:1], 5, v14
	v_cmp_eq_u32_e64 s[2:3], 3, v14
	v_lshrrev_b32_e32 v12, 2, v12
	s_or_b64 s[0:1], s[2:3], s[0:1]
	v_addc_co_u32_e64 v12, s[0:1], 0, v12, s[0:1]
	v_cmp_gt_i32_e64 s[0:1], 31, v13
	v_lshl_add_u64 v[0:1], v[0:1], 0, s[8:9]
	s_nop 0
	v_cndmask_b32_e64 v12, v2, v12, s[0:1]
	v_cmp_ne_u32_e64 s[0:1], 0, v4
	s_nop 1
	v_cndmask_b32_e64 v4, 0, 1, s[0:1]
	v_lshl_or_b32 v4, v4, 9, v2
	v_cmp_eq_u32_e64 s[0:1], s10, v13
	s_nop 1
	v_cndmask_b32_e64 v11, v12, v4, s[0:1]
	v_and_b32_sdwa v12, v5, s11 dst_sel:DWORD dst_unused:UNUSED_PAD src0_sel:WORD_1 src1_sel:DWORD
	v_cvt_f64_f32_e32 v[4:5], v10
	v_mul_f64 v[4:5], v[4:5], s[6:7]
	v_and_or_b32 v4, v5, s14, v4
	v_cmp_ne_u32_e64 s[0:1], 0, v4
	v_lshrrev_b32_e32 v10, 8, v5
	v_bfe_u32 v13, v5, 20, 11
	v_cndmask_b32_e64 v4, 0, 1, s[0:1]
	v_and_or_b32 v4, v10, s12, v4
	v_sub_u32_e32 v14, 0x3f1, v13
	v_or_b32_e32 v10, 0x1000, v4
	v_med3_i32 v14, v14, 0, 13
	v_lshrrev_b32_e32 v15, v14, v10
	v_lshlrev_b32_e32 v14, v14, v15
	v_cmp_ne_u32_e64 s[0:1], v14, v10
	v_add_u32_e32 v13, 0xfffffc10, v13
	v_lshl_or_b32 v14, v13, 12, v4
	v_cndmask_b32_e64 v10, 0, 1, s[0:1]
	v_or_b32_e32 v10, v15, v10
	v_cmp_gt_i32_e64 s[0:1], 1, v13
	v_lshrrev_b32_e32 v5, 16, v5
	s_nop 0
	v_cndmask_b32_e64 v10, v14, v10, s[0:1]
	v_and_b32_e32 v14, 7, v10
	v_cmp_lt_i32_e64 s[0:1], 5, v14
	v_cmp_eq_u32_e64 s[2:3], 3, v14
	v_lshrrev_b32_e32 v10, 2, v10
	s_or_b64 s[0:1], s[2:3], s[0:1]
	v_addc_co_u32_e64 v10, s[0:1], 0, v10, s[0:1]
	ds_read_b32 v14, v45 offset:3600
	v_cmp_gt_i32_e64 s[0:1], 31, v13
	s_nop 1
	v_cndmask_b32_e64 v10, v2, v10, s[0:1]
	v_cmp_ne_u32_e64 s[0:1], 0, v4
	s_nop 1
	v_cndmask_b32_e64 v4, 0, 1, s[0:1]
	v_lshl_or_b32 v4, v4, 9, v2
	v_cmp_eq_u32_e64 s[0:1], s10, v13
	s_nop 1
	v_cndmask_b32_e64 v4, v10, v4, s[0:1]
	s_waitcnt lgkmcnt(0)
	v_lshrrev_b32_e32 v10, 16, v14
	v_and_or_b32 v4, v5, s11, v4
	v_bitop3_b32 v5, v12, s13, v11 bitop3:0xc8
	v_mul_f16_sdwa v11, v88, v10 dst_sel:DWORD dst_unused:UNUSED_PAD src0_sel:WORD_1 src1_sel:DWORD
	v_fma_f16 v11, v88, v14, v11
	v_cvt_f32_f16_e32 v11, v11
	v_lshl_or_b32 v4, v4, 16, v5
	global_store_dword v[0:1], v4, off
	v_lshl_add_u64 v[0:1], v[0:1], 0, s[8:9]
	v_cvt_f64_f32_e32 v[4:5], v11
	v_mul_f64 v[4:5], v[4:5], s[6:7]
	v_and_or_b32 v4, v5, s14, v4
	v_cmp_ne_u32_e64 s[0:1], 0, v4
	v_lshrrev_b32_e32 v11, 8, v5
	v_bfe_u32 v12, v5, 20, 11
	v_cndmask_b32_e64 v4, 0, 1, s[0:1]
	v_and_or_b32 v4, v11, s12, v4
	v_sub_u32_e32 v13, 0x3f1, v12
	v_or_b32_e32 v11, 0x1000, v4
	v_med3_i32 v13, v13, 0, 13
	v_lshrrev_b32_e32 v15, v13, v11
	v_lshlrev_b32_e32 v13, v13, v15
	v_cmp_ne_u32_e64 s[0:1], v13, v11
	v_add_u32_e32 v12, 0xfffffc10, v12
	v_lshl_or_b32 v13, v12, 12, v4
	v_cndmask_b32_e64 v11, 0, 1, s[0:1]
	v_or_b32_e32 v11, v15, v11
	v_cmp_gt_i32_e64 s[0:1], 1, v12
	s_nop 1
	v_cndmask_b32_e64 v11, v13, v11, s[0:1]
	v_and_b32_e32 v13, 7, v11
	v_cmp_lt_i32_e64 s[0:1], 5, v13
	v_cmp_eq_u32_e64 s[2:3], 3, v13
	v_lshrrev_b32_e32 v11, 2, v11
	s_or_b64 s[0:1], s[2:3], s[0:1]
	v_mul_f16_sdwa v13, v88, v14 dst_sel:DWORD dst_unused:UNUSED_PAD src0_sel:WORD_1 src1_sel:DWORD
	v_addc_co_u32_e64 v11, s[0:1], 0, v11, s[0:1]
	v_fma_f16 v10, v88, v10, -v13
	v_cmp_gt_i32_e64 s[0:1], 31, v12
	v_cvt_f32_f16_e32 v10, v10
	s_nop 0
	v_cndmask_b32_e64 v11, v2, v11, s[0:1]
	v_cmp_ne_u32_e64 s[0:1], 0, v4
	s_nop 1
	v_cndmask_b32_e64 v4, 0, 1, s[0:1]
	v_lshl_or_b32 v4, v4, 9, v2
	v_cmp_eq_u32_e64 s[0:1], s10, v12
	v_and_b32_sdwa v12, v5, s11 dst_sel:DWORD dst_unused:UNUSED_PAD src0_sel:WORD_1 src1_sel:DWORD
	s_nop 0
	v_cndmask_b32_e64 v11, v11, v4, s[0:1]
	v_cvt_f64_f32_e32 v[4:5], v10
	v_mul_f64 v[4:5], v[4:5], s[6:7]
	v_and_or_b32 v4, v5, s14, v4
	v_cmp_ne_u32_e64 s[0:1], 0, v4
	v_lshrrev_b32_e32 v10, 8, v5
	v_bfe_u32 v13, v5, 20, 11
	v_cndmask_b32_e64 v4, 0, 1, s[0:1]
	v_and_or_b32 v4, v10, s12, v4
	v_sub_u32_e32 v14, 0x3f1, v13
	v_or_b32_e32 v10, 0x1000, v4
	v_med3_i32 v14, v14, 0, 13
	v_lshrrev_b32_e32 v15, v14, v10
	v_lshlrev_b32_e32 v14, v14, v15
	v_cmp_ne_u32_e64 s[0:1], v14, v10
	v_add_u32_e32 v13, 0xfffffc10, v13
	v_lshl_or_b32 v14, v13, 12, v4
	v_cndmask_b32_e64 v10, 0, 1, s[0:1]
	v_or_b32_e32 v10, v15, v10
	v_cmp_gt_i32_e64 s[0:1], 1, v13
	v_lshrrev_b32_e32 v5, 16, v5
	s_nop 0
	v_cndmask_b32_e64 v10, v14, v10, s[0:1]
	v_and_b32_e32 v14, 7, v10
	v_cmp_lt_i32_e64 s[0:1], 5, v14
	v_cmp_eq_u32_e64 s[2:3], 3, v14
	v_lshrrev_b32_e32 v10, 2, v10
	s_or_b64 s[0:1], s[2:3], s[0:1]
	v_addc_co_u32_e64 v10, s[0:1], 0, v10, s[0:1]
	v_cmp_gt_i32_e64 s[0:1], 31, v13
	s_nop 1
	v_cndmask_b32_e64 v10, v2, v10, s[0:1]
	v_cmp_ne_u32_e64 s[0:1], 0, v4
	s_nop 1
	v_cndmask_b32_e64 v4, 0, 1, s[0:1]
	v_lshl_or_b32 v4, v4, 9, v2
	v_cmp_eq_u32_e64 s[0:1], s10, v13
	s_nop 1
	v_cndmask_b32_e64 v4, v10, v4, s[0:1]
	v_and_or_b32 v4, v5, s11, v4
	v_bitop3_b32 v5, v12, s13, v11 bitop3:0xc8
	v_lshl_or_b32 v4, v4, 16, v5
	global_store_dword v[0:1], v4, off
	s_and_b64 exec, exec, vcc
	s_cbranch_execz .LBB0_23
; %bb.22:
	global_load_dword v10, v[40:41], off offset:156
	ds_read2_b32 v[4:5], v45 offset0:39 offset1:114
	v_mov_b32_e32 v11, 0xfffff28c
	v_mad_u64_u32 v[0:1], s[0:1], s4, v11, v[0:1]
	s_mul_i32 s2, s5, 0xfffff28c
	s_waitcnt lgkmcnt(0)
	v_lshrrev_b32_e32 v11, 16, v4
	s_sub_i32 s0, s2, s4
	v_add_u32_e32 v1, s0, v1
	s_waitcnt vmcnt(0)
	v_mul_f16_sdwa v12, v11, v10 dst_sel:DWORD dst_unused:UNUSED_PAD src0_sel:DWORD src1_sel:WORD_1
	v_mul_f16_sdwa v13, v4, v10 dst_sel:DWORD dst_unused:UNUSED_PAD src0_sel:DWORD src1_sel:WORD_1
	v_fma_f16 v4, v4, v10, v12
	v_fma_f16 v10, v10, v11, -v13
	v_cvt_f32_f16_e32 v4, v4
	v_cvt_f32_f16_e32 v12, v10
	v_cvt_f64_f32_e32 v[10:11], v4
	v_cvt_f64_f32_e32 v[12:13], v12
	v_mul_f64 v[10:11], v[10:11], s[6:7]
	v_mul_f64 v[12:13], v[12:13], s[6:7]
	v_and_or_b32 v4, v11, s14, v10
	v_and_or_b32 v12, v13, s14, v12
	v_cmp_ne_u32_e32 vcc, 0, v4
	v_lshrrev_b32_e32 v10, 8, v11
	v_bfe_u32 v14, v11, 20, 11
	v_cndmask_b32_e64 v4, 0, 1, vcc
	v_cmp_ne_u32_e32 vcc, 0, v12
	v_lshrrev_b32_e32 v15, 8, v13
	v_bfe_u32 v16, v13, 20, 11
	v_sub_u32_e32 v17, 0x3f1, v14
	v_cndmask_b32_e64 v12, 0, 1, vcc
	v_and_or_b32 v4, v10, s12, v4
	v_sub_u32_e32 v18, 0x3f1, v16
	v_med3_i32 v10, v17, 0, 13
	v_and_or_b32 v12, v15, s12, v12
	v_or_b32_e32 v17, 0x1000, v4
	v_add_u32_e32 v14, 0xfffffc10, v14
	v_med3_i32 v15, v18, 0, 13
	v_cmp_ne_u32_e32 vcc, 0, v4
	v_or_b32_e32 v19, 0x1000, v12
	v_lshrrev_b32_e32 v21, v10, v17
	v_add_u32_e32 v16, 0xfffffc10, v16
	v_lshl_or_b32 v18, v14, 12, v4
	v_cndmask_b32_e64 v4, 0, 1, vcc
	v_cmp_ne_u32_e32 vcc, 0, v12
	v_lshrrev_b32_e32 v22, v15, v19
	v_lshlrev_b32_e32 v10, v10, v21
	v_lshl_or_b32 v20, v16, 12, v12
	v_cndmask_b32_e64 v12, 0, 1, vcc
	v_lshlrev_b32_e32 v15, v15, v22
	v_cmp_ne_u32_e32 vcc, v10, v17
	v_lshl_or_b32 v4, v4, 9, v2
	v_lshl_or_b32 v12, v12, 9, v2
	v_cndmask_b32_e64 v10, 0, 1, vcc
	v_cmp_ne_u32_e32 vcc, v15, v19
	v_or_b32_e32 v10, v21, v10
	v_and_b32_sdwa v11, v11, s11 dst_sel:DWORD dst_unused:UNUSED_PAD src0_sel:WORD_1 src1_sel:DWORD
	v_cndmask_b32_e64 v15, 0, 1, vcc
	v_cmp_gt_i32_e32 vcc, 1, v14
	v_or_b32_e32 v15, v22, v15
	v_lshrrev_b32_e32 v13, 16, v13
	v_cndmask_b32_e32 v10, v18, v10, vcc
	v_cmp_gt_i32_e32 vcc, 1, v16
	v_and_b32_e32 v17, 7, v10
	v_cmp_eq_u32_e64 s[0:1], 3, v17
	v_cndmask_b32_e32 v15, v20, v15, vcc
	v_cmp_lt_i32_e32 vcc, 5, v17
	v_lshrrev_b32_e32 v10, 2, v10
	v_and_b32_e32 v18, 7, v15
	s_or_b64 vcc, s[0:1], vcc
	v_cmp_lt_i32_e64 s[2:3], 5, v18
	v_cmp_eq_u32_e64 s[4:5], 3, v18
	v_addc_co_u32_e32 v10, vcc, 0, v10, vcc
	v_lshrrev_b32_e32 v15, 2, v15
	s_or_b64 vcc, s[4:5], s[2:3]
	v_addc_co_u32_e32 v15, vcc, 0, v15, vcc
	v_cmp_gt_i32_e32 vcc, 31, v14
	s_nop 1
	v_cndmask_b32_e32 v10, v2, v10, vcc
	v_cmp_gt_i32_e32 vcc, 31, v16
	s_nop 1
	v_cndmask_b32_e32 v15, v2, v15, vcc
	v_cmp_eq_u32_e32 vcc, s10, v14
	s_nop 1
	v_cndmask_b32_e32 v4, v10, v4, vcc
	v_cmp_eq_u32_e32 vcc, s10, v16
	v_bitop3_b32 v4, v11, s13, v4 bitop3:0xc8
	s_nop 0
	v_cndmask_b32_e32 v10, v15, v12, vcc
	v_and_or_b32 v10, v13, s11, v10
	v_lshl_or_b32 v4, v10, 16, v4
	global_store_dword v[0:1], v4, off
	global_load_dword v4, v[40:41], off offset:456
	v_lshrrev_b32_e32 v10, 16, v5
	v_lshl_add_u64 v[0:1], v[0:1], 0, s[8:9]
	s_waitcnt vmcnt(0)
	v_mul_f16_sdwa v11, v10, v4 dst_sel:DWORD dst_unused:UNUSED_PAD src0_sel:DWORD src1_sel:WORD_1
	v_mul_f16_sdwa v12, v5, v4 dst_sel:DWORD dst_unused:UNUSED_PAD src0_sel:DWORD src1_sel:WORD_1
	v_fma_f16 v5, v5, v4, v11
	v_fma_f16 v4, v4, v10, -v12
	v_cvt_f32_f16_e32 v5, v5
	v_cvt_f32_f16_e32 v10, v4
	v_cvt_f64_f32_e32 v[4:5], v5
	v_cvt_f64_f32_e32 v[10:11], v10
	v_mul_f64 v[4:5], v[4:5], s[6:7]
	v_mul_f64 v[10:11], v[10:11], s[6:7]
	v_and_or_b32 v4, v5, s14, v4
	v_and_or_b32 v10, v11, s14, v10
	v_cmp_ne_u32_e32 vcc, 0, v4
	v_lshrrev_b32_e32 v12, 8, v5
	v_bfe_u32 v13, v5, 20, 11
	v_cndmask_b32_e64 v4, 0, 1, vcc
	v_cmp_ne_u32_e32 vcc, 0, v10
	v_lshrrev_b32_e32 v14, 8, v11
	v_bfe_u32 v15, v11, 20, 11
	v_sub_u32_e32 v16, 0x3f1, v13
	v_cndmask_b32_e64 v10, 0, 1, vcc
	v_and_or_b32 v4, v12, s12, v4
	v_sub_u32_e32 v17, 0x3f1, v15
	v_med3_i32 v12, v16, 0, 13
	v_and_or_b32 v10, v14, s12, v10
	v_or_b32_e32 v16, 0x1000, v4
	v_add_u32_e32 v13, 0xfffffc10, v13
	v_med3_i32 v14, v17, 0, 13
	v_cmp_ne_u32_e32 vcc, 0, v4
	v_or_b32_e32 v18, 0x1000, v10
	v_lshrrev_b32_e32 v20, v12, v16
	v_add_u32_e32 v15, 0xfffffc10, v15
	v_lshl_or_b32 v17, v13, 12, v4
	v_cndmask_b32_e64 v4, 0, 1, vcc
	v_cmp_ne_u32_e32 vcc, 0, v10
	v_lshrrev_b32_e32 v21, v14, v18
	v_lshlrev_b32_e32 v12, v12, v20
	v_lshl_or_b32 v19, v15, 12, v10
	v_cndmask_b32_e64 v10, 0, 1, vcc
	v_lshlrev_b32_e32 v14, v14, v21
	v_cmp_ne_u32_e32 vcc, v12, v16
	v_lshl_or_b32 v4, v4, 9, v2
	v_lshl_or_b32 v10, v10, 9, v2
	v_cndmask_b32_e64 v12, 0, 1, vcc
	v_cmp_ne_u32_e32 vcc, v14, v18
	v_or_b32_e32 v12, v20, v12
	v_and_b32_sdwa v5, v5, s11 dst_sel:DWORD dst_unused:UNUSED_PAD src0_sel:WORD_1 src1_sel:DWORD
	v_cndmask_b32_e64 v14, 0, 1, vcc
	v_cmp_gt_i32_e32 vcc, 1, v13
	v_or_b32_e32 v14, v21, v14
	v_lshrrev_b32_e32 v11, 16, v11
	v_cndmask_b32_e32 v12, v17, v12, vcc
	v_cmp_gt_i32_e32 vcc, 1, v15
	v_and_b32_e32 v16, 7, v12
	v_cmp_eq_u32_e64 s[0:1], 3, v16
	v_cndmask_b32_e32 v14, v19, v14, vcc
	v_cmp_lt_i32_e32 vcc, 5, v16
	v_lshrrev_b32_e32 v12, 2, v12
	v_and_b32_e32 v17, 7, v14
	s_or_b64 vcc, s[0:1], vcc
	v_cmp_lt_i32_e64 s[2:3], 5, v17
	v_cmp_eq_u32_e64 s[4:5], 3, v17
	v_addc_co_u32_e32 v12, vcc, 0, v12, vcc
	v_lshrrev_b32_e32 v14, 2, v14
	s_or_b64 vcc, s[4:5], s[2:3]
	v_addc_co_u32_e32 v14, vcc, 0, v14, vcc
	v_cmp_gt_i32_e32 vcc, 31, v13
	s_nop 1
	v_cndmask_b32_e32 v12, v2, v12, vcc
	v_cmp_gt_i32_e32 vcc, 31, v15
	s_nop 1
	v_cndmask_b32_e32 v14, v2, v14, vcc
	v_cmp_eq_u32_e32 vcc, s10, v13
	s_nop 1
	v_cndmask_b32_e32 v4, v12, v4, vcc
	v_cmp_eq_u32_e32 vcc, s10, v15
	v_bitop3_b32 v4, v5, s13, v4 bitop3:0xc8
	s_nop 0
	v_cndmask_b32_e32 v10, v14, v10, vcc
	v_and_or_b32 v10, v11, s11, v10
	v_lshl_or_b32 v4, v10, 16, v4
	global_store_dword v[0:1], v4, off
	global_load_dword v10, v[40:41], off offset:756
	ds_read2_b32 v[4:5], v9 offset0:61 offset1:136
	v_lshl_add_u64 v[0:1], v[0:1], 0, s[8:9]
	s_waitcnt lgkmcnt(0)
	v_lshrrev_b32_e32 v9, 16, v4
	s_waitcnt vmcnt(0)
	v_mul_f16_sdwa v11, v9, v10 dst_sel:DWORD dst_unused:UNUSED_PAD src0_sel:DWORD src1_sel:WORD_1
	v_mul_f16_sdwa v12, v4, v10 dst_sel:DWORD dst_unused:UNUSED_PAD src0_sel:DWORD src1_sel:WORD_1
	v_fma_f16 v4, v4, v10, v11
	v_fma_f16 v9, v10, v9, -v12
	v_cvt_f32_f16_e32 v4, v4
	v_cvt_f32_f16_e32 v9, v9
	v_cvt_f64_f32_e32 v[10:11], v4
	v_cvt_f64_f32_e32 v[12:13], v9
	v_mul_f64 v[10:11], v[10:11], s[6:7]
	v_mul_f64 v[12:13], v[12:13], s[6:7]
	v_and_or_b32 v4, v11, s14, v10
	v_and_or_b32 v12, v13, s14, v12
	v_cmp_ne_u32_e32 vcc, 0, v4
	v_lshrrev_b32_e32 v9, 8, v11
	v_bfe_u32 v10, v11, 20, 11
	v_cndmask_b32_e64 v4, 0, 1, vcc
	v_cmp_ne_u32_e32 vcc, 0, v12
	v_lshrrev_b32_e32 v14, 8, v13
	v_bfe_u32 v15, v13, 20, 11
	v_sub_u32_e32 v16, 0x3f1, v10
	v_cndmask_b32_e64 v12, 0, 1, vcc
	v_and_or_b32 v4, v9, s12, v4
	v_sub_u32_e32 v17, 0x3f1, v15
	v_med3_i32 v9, v16, 0, 13
	v_and_or_b32 v12, v14, s12, v12
	v_or_b32_e32 v16, 0x1000, v4
	v_add_u32_e32 v10, 0xfffffc10, v10
	v_med3_i32 v14, v17, 0, 13
	v_cmp_ne_u32_e32 vcc, 0, v4
	v_or_b32_e32 v18, 0x1000, v12
	v_lshrrev_b32_e32 v20, v9, v16
	v_add_u32_e32 v15, 0xfffffc10, v15
	v_lshl_or_b32 v17, v10, 12, v4
	v_cndmask_b32_e64 v4, 0, 1, vcc
	v_cmp_ne_u32_e32 vcc, 0, v12
	v_lshrrev_b32_e32 v21, v14, v18
	v_lshlrev_b32_e32 v9, v9, v20
	v_lshl_or_b32 v19, v15, 12, v12
	v_cndmask_b32_e64 v12, 0, 1, vcc
	v_lshlrev_b32_e32 v14, v14, v21
	v_cmp_ne_u32_e32 vcc, v9, v16
	v_lshl_or_b32 v4, v4, 9, v2
	v_lshl_or_b32 v12, v12, 9, v2
	v_cndmask_b32_e64 v9, 0, 1, vcc
	v_cmp_ne_u32_e32 vcc, v14, v18
	v_or_b32_e32 v9, v20, v9
	v_and_b32_sdwa v11, v11, s11 dst_sel:DWORD dst_unused:UNUSED_PAD src0_sel:WORD_1 src1_sel:DWORD
	v_cndmask_b32_e64 v14, 0, 1, vcc
	v_cmp_gt_i32_e32 vcc, 1, v10
	v_or_b32_e32 v14, v21, v14
	v_lshrrev_b32_e32 v13, 16, v13
	v_cndmask_b32_e32 v9, v17, v9, vcc
	v_cmp_gt_i32_e32 vcc, 1, v15
	v_and_b32_e32 v16, 7, v9
	v_cmp_eq_u32_e64 s[0:1], 3, v16
	v_cndmask_b32_e32 v14, v19, v14, vcc
	v_cmp_lt_i32_e32 vcc, 5, v16
	v_lshrrev_b32_e32 v9, 2, v9
	v_and_b32_e32 v17, 7, v14
	s_or_b64 vcc, s[0:1], vcc
	v_cmp_lt_i32_e64 s[2:3], 5, v17
	v_cmp_eq_u32_e64 s[4:5], 3, v17
	v_addc_co_u32_e32 v9, vcc, 0, v9, vcc
	v_lshrrev_b32_e32 v14, 2, v14
	s_or_b64 vcc, s[4:5], s[2:3]
	v_addc_co_u32_e32 v14, vcc, 0, v14, vcc
	v_cmp_gt_i32_e32 vcc, 31, v10
	s_nop 1
	v_cndmask_b32_e32 v9, v2, v9, vcc
	v_cmp_gt_i32_e32 vcc, 31, v15
	s_nop 1
	v_cndmask_b32_e32 v14, v2, v14, vcc
	v_cmp_eq_u32_e32 vcc, s10, v10
	s_nop 1
	v_cndmask_b32_e32 v4, v9, v4, vcc
	v_cmp_eq_u32_e32 vcc, s10, v15
	v_bitop3_b32 v4, v11, s13, v4 bitop3:0xc8
	s_nop 0
	v_cndmask_b32_e32 v9, v14, v12, vcc
	v_and_or_b32 v9, v13, s11, v9
	v_lshl_or_b32 v4, v9, 16, v4
	global_store_dword v[0:1], v4, off
	global_load_dword v4, v[40:41], off offset:1056
	v_lshrrev_b32_e32 v9, 16, v5
	v_lshl_add_u64 v[0:1], v[0:1], 0, s[8:9]
	s_waitcnt vmcnt(0)
	v_mul_f16_sdwa v10, v9, v4 dst_sel:DWORD dst_unused:UNUSED_PAD src0_sel:DWORD src1_sel:WORD_1
	v_mul_f16_sdwa v11, v5, v4 dst_sel:DWORD dst_unused:UNUSED_PAD src0_sel:DWORD src1_sel:WORD_1
	v_fma_f16 v5, v5, v4, v10
	v_fma_f16 v4, v4, v9, -v11
	v_cvt_f32_f16_e32 v5, v5
	v_cvt_f32_f16_e32 v9, v4
	v_cvt_f64_f32_e32 v[4:5], v5
	v_cvt_f64_f32_e32 v[10:11], v9
	v_mul_f64 v[4:5], v[4:5], s[6:7]
	v_mul_f64 v[10:11], v[10:11], s[6:7]
	v_and_or_b32 v4, v5, s14, v4
	v_and_or_b32 v10, v11, s14, v10
	v_cmp_ne_u32_e32 vcc, 0, v4
	v_lshrrev_b32_e32 v9, 8, v5
	v_bfe_u32 v12, v5, 20, 11
	v_cndmask_b32_e64 v4, 0, 1, vcc
	v_cmp_ne_u32_e32 vcc, 0, v10
	v_lshrrev_b32_e32 v13, 8, v11
	v_bfe_u32 v14, v11, 20, 11
	v_sub_u32_e32 v15, 0x3f1, v12
	v_cndmask_b32_e64 v10, 0, 1, vcc
	v_and_or_b32 v4, v9, s12, v4
	v_sub_u32_e32 v16, 0x3f1, v14
	v_med3_i32 v9, v15, 0, 13
	v_and_or_b32 v10, v13, s12, v10
	v_or_b32_e32 v15, 0x1000, v4
	v_add_u32_e32 v12, 0xfffffc10, v12
	v_med3_i32 v13, v16, 0, 13
	v_cmp_ne_u32_e32 vcc, 0, v4
	v_or_b32_e32 v17, 0x1000, v10
	v_lshrrev_b32_e32 v19, v9, v15
	v_add_u32_e32 v14, 0xfffffc10, v14
	v_lshl_or_b32 v16, v12, 12, v4
	v_cndmask_b32_e64 v4, 0, 1, vcc
	v_cmp_ne_u32_e32 vcc, 0, v10
	v_lshrrev_b32_e32 v20, v13, v17
	v_lshlrev_b32_e32 v9, v9, v19
	v_lshl_or_b32 v18, v14, 12, v10
	v_cndmask_b32_e64 v10, 0, 1, vcc
	v_lshlrev_b32_e32 v13, v13, v20
	v_cmp_ne_u32_e32 vcc, v9, v15
	v_lshl_or_b32 v4, v4, 9, v2
	v_lshl_or_b32 v10, v10, 9, v2
	v_cndmask_b32_e64 v9, 0, 1, vcc
	v_cmp_ne_u32_e32 vcc, v13, v17
	v_or_b32_e32 v9, v19, v9
	v_and_b32_sdwa v5, v5, s11 dst_sel:DWORD dst_unused:UNUSED_PAD src0_sel:WORD_1 src1_sel:DWORD
	v_cndmask_b32_e64 v13, 0, 1, vcc
	v_cmp_gt_i32_e32 vcc, 1, v12
	v_or_b32_e32 v13, v20, v13
	v_lshrrev_b32_e32 v11, 16, v11
	v_cndmask_b32_e32 v9, v16, v9, vcc
	v_cmp_gt_i32_e32 vcc, 1, v14
	v_and_b32_e32 v15, 7, v9
	v_cmp_eq_u32_e64 s[0:1], 3, v15
	v_cndmask_b32_e32 v13, v18, v13, vcc
	v_cmp_lt_i32_e32 vcc, 5, v15
	v_lshrrev_b32_e32 v9, 2, v9
	v_and_b32_e32 v16, 7, v13
	s_or_b64 vcc, s[0:1], vcc
	v_cmp_lt_i32_e64 s[2:3], 5, v16
	v_cmp_eq_u32_e64 s[4:5], 3, v16
	v_addc_co_u32_e32 v9, vcc, 0, v9, vcc
	v_lshrrev_b32_e32 v13, 2, v13
	s_or_b64 vcc, s[4:5], s[2:3]
	v_addc_co_u32_e32 v13, vcc, 0, v13, vcc
	v_cmp_gt_i32_e32 vcc, 31, v12
	s_nop 1
	v_cndmask_b32_e32 v9, v2, v9, vcc
	v_cmp_gt_i32_e32 vcc, 31, v14
	s_nop 1
	v_cndmask_b32_e32 v13, v2, v13, vcc
	v_cmp_eq_u32_e32 vcc, s10, v12
	s_nop 1
	v_cndmask_b32_e32 v4, v9, v4, vcc
	v_cmp_eq_u32_e32 vcc, s10, v14
	v_bitop3_b32 v4, v5, s13, v4 bitop3:0xc8
	s_nop 0
	v_cndmask_b32_e32 v9, v13, v10, vcc
	v_and_or_b32 v9, v11, s11, v9
	v_lshl_or_b32 v4, v9, 16, v4
	global_store_dword v[0:1], v4, off
	global_load_dword v9, v[40:41], off offset:1356
	ds_read2_b32 v[4:5], v8 offset0:83 offset1:158
	v_lshl_add_u64 v[0:1], v[0:1], 0, s[8:9]
	s_waitcnt lgkmcnt(0)
	v_lshrrev_b32_e32 v8, 16, v4
	s_waitcnt vmcnt(0)
	v_mul_f16_sdwa v10, v8, v9 dst_sel:DWORD dst_unused:UNUSED_PAD src0_sel:DWORD src1_sel:WORD_1
	v_mul_f16_sdwa v11, v4, v9 dst_sel:DWORD dst_unused:UNUSED_PAD src0_sel:DWORD src1_sel:WORD_1
	v_fma_f16 v4, v4, v9, v10
	v_fma_f16 v8, v9, v8, -v11
	v_cvt_f32_f16_e32 v4, v4
	v_cvt_f32_f16_e32 v10, v8
	v_cvt_f64_f32_e32 v[8:9], v4
	v_cvt_f64_f32_e32 v[10:11], v10
	v_mul_f64 v[8:9], v[8:9], s[6:7]
	v_mul_f64 v[10:11], v[10:11], s[6:7]
	v_and_or_b32 v4, v9, s14, v8
	v_and_or_b32 v10, v11, s14, v10
	v_cmp_ne_u32_e32 vcc, 0, v4
	v_lshrrev_b32_e32 v8, 8, v9
	v_bfe_u32 v12, v9, 20, 11
	v_cndmask_b32_e64 v4, 0, 1, vcc
	v_cmp_ne_u32_e32 vcc, 0, v10
	v_lshrrev_b32_e32 v13, 8, v11
	v_bfe_u32 v14, v11, 20, 11
	v_sub_u32_e32 v15, 0x3f1, v12
	v_cndmask_b32_e64 v10, 0, 1, vcc
	v_and_or_b32 v4, v8, s12, v4
	v_sub_u32_e32 v16, 0x3f1, v14
	v_med3_i32 v8, v15, 0, 13
	v_and_or_b32 v10, v13, s12, v10
	v_or_b32_e32 v15, 0x1000, v4
	v_add_u32_e32 v12, 0xfffffc10, v12
	v_med3_i32 v13, v16, 0, 13
	v_cmp_ne_u32_e32 vcc, 0, v4
	v_or_b32_e32 v17, 0x1000, v10
	v_lshrrev_b32_e32 v19, v8, v15
	v_add_u32_e32 v14, 0xfffffc10, v14
	v_lshl_or_b32 v16, v12, 12, v4
	v_cndmask_b32_e64 v4, 0, 1, vcc
	v_cmp_ne_u32_e32 vcc, 0, v10
	v_lshrrev_b32_e32 v20, v13, v17
	v_lshlrev_b32_e32 v8, v8, v19
	v_lshl_or_b32 v18, v14, 12, v10
	v_cndmask_b32_e64 v10, 0, 1, vcc
	v_lshlrev_b32_e32 v13, v13, v20
	v_cmp_ne_u32_e32 vcc, v8, v15
	v_lshl_or_b32 v4, v4, 9, v2
	v_lshl_or_b32 v10, v10, 9, v2
	v_cndmask_b32_e64 v8, 0, 1, vcc
	v_cmp_ne_u32_e32 vcc, v13, v17
	v_or_b32_e32 v8, v19, v8
	v_and_b32_sdwa v9, v9, s11 dst_sel:DWORD dst_unused:UNUSED_PAD src0_sel:WORD_1 src1_sel:DWORD
	v_cndmask_b32_e64 v13, 0, 1, vcc
	v_cmp_gt_i32_e32 vcc, 1, v12
	v_or_b32_e32 v13, v20, v13
	v_lshrrev_b32_e32 v11, 16, v11
	v_cndmask_b32_e32 v8, v16, v8, vcc
	v_cmp_gt_i32_e32 vcc, 1, v14
	v_and_b32_e32 v15, 7, v8
	v_cmp_eq_u32_e64 s[0:1], 3, v15
	v_cndmask_b32_e32 v13, v18, v13, vcc
	v_cmp_lt_i32_e32 vcc, 5, v15
	v_lshrrev_b32_e32 v8, 2, v8
	v_and_b32_e32 v16, 7, v13
	s_or_b64 vcc, s[0:1], vcc
	v_cmp_lt_i32_e64 s[2:3], 5, v16
	v_cmp_eq_u32_e64 s[4:5], 3, v16
	v_addc_co_u32_e32 v8, vcc, 0, v8, vcc
	v_lshrrev_b32_e32 v13, 2, v13
	s_or_b64 vcc, s[4:5], s[2:3]
	v_addc_co_u32_e32 v13, vcc, 0, v13, vcc
	v_cmp_gt_i32_e32 vcc, 31, v12
	s_nop 1
	v_cndmask_b32_e32 v8, v2, v8, vcc
	v_cmp_gt_i32_e32 vcc, 31, v14
	s_nop 1
	v_cndmask_b32_e32 v13, v2, v13, vcc
	v_cmp_eq_u32_e32 vcc, s10, v12
	s_nop 1
	v_cndmask_b32_e32 v4, v8, v4, vcc
	v_cmp_eq_u32_e32 vcc, s10, v14
	v_bitop3_b32 v4, v9, s13, v4 bitop3:0xc8
	s_nop 0
	v_cndmask_b32_e32 v8, v13, v10, vcc
	v_and_or_b32 v8, v11, s11, v8
	v_lshl_or_b32 v4, v8, 16, v4
	global_store_dword v[0:1], v4, off
	global_load_dword v4, v[40:41], off offset:1656
	v_lshrrev_b32_e32 v8, 16, v5
	v_lshl_add_u64 v[0:1], v[0:1], 0, s[8:9]
	s_waitcnt vmcnt(0)
	v_mul_f16_sdwa v9, v8, v4 dst_sel:DWORD dst_unused:UNUSED_PAD src0_sel:DWORD src1_sel:WORD_1
	v_mul_f16_sdwa v10, v5, v4 dst_sel:DWORD dst_unused:UNUSED_PAD src0_sel:DWORD src1_sel:WORD_1
	v_fma_f16 v5, v5, v4, v9
	v_fma_f16 v4, v4, v8, -v10
	v_cvt_f32_f16_e32 v5, v5
	v_cvt_f32_f16_e32 v8, v4
	v_cvt_f64_f32_e32 v[4:5], v5
	v_cvt_f64_f32_e32 v[8:9], v8
	v_mul_f64 v[4:5], v[4:5], s[6:7]
	v_mul_f64 v[8:9], v[8:9], s[6:7]
	v_and_or_b32 v4, v5, s14, v4
	v_and_or_b32 v8, v9, s14, v8
	v_cmp_ne_u32_e32 vcc, 0, v4
	v_lshrrev_b32_e32 v10, 8, v5
	v_bfe_u32 v11, v5, 20, 11
	v_cndmask_b32_e64 v4, 0, 1, vcc
	v_cmp_ne_u32_e32 vcc, 0, v8
	v_lshrrev_b32_e32 v12, 8, v9
	v_bfe_u32 v13, v9, 20, 11
	v_sub_u32_e32 v14, 0x3f1, v11
	v_cndmask_b32_e64 v8, 0, 1, vcc
	v_and_or_b32 v4, v10, s12, v4
	v_sub_u32_e32 v15, 0x3f1, v13
	v_med3_i32 v10, v14, 0, 13
	v_and_or_b32 v8, v12, s12, v8
	v_or_b32_e32 v14, 0x1000, v4
	v_add_u32_e32 v11, 0xfffffc10, v11
	v_med3_i32 v12, v15, 0, 13
	v_cmp_ne_u32_e32 vcc, 0, v4
	v_or_b32_e32 v16, 0x1000, v8
	v_lshrrev_b32_e32 v18, v10, v14
	v_add_u32_e32 v13, 0xfffffc10, v13
	v_lshl_or_b32 v15, v11, 12, v4
	v_cndmask_b32_e64 v4, 0, 1, vcc
	v_cmp_ne_u32_e32 vcc, 0, v8
	v_lshrrev_b32_e32 v19, v12, v16
	v_lshlrev_b32_e32 v10, v10, v18
	v_lshl_or_b32 v17, v13, 12, v8
	v_cndmask_b32_e64 v8, 0, 1, vcc
	v_lshlrev_b32_e32 v12, v12, v19
	v_cmp_ne_u32_e32 vcc, v10, v14
	v_lshl_or_b32 v4, v4, 9, v2
	v_lshl_or_b32 v8, v8, 9, v2
	v_cndmask_b32_e64 v10, 0, 1, vcc
	v_cmp_ne_u32_e32 vcc, v12, v16
	v_or_b32_e32 v10, v18, v10
	v_and_b32_sdwa v5, v5, s11 dst_sel:DWORD dst_unused:UNUSED_PAD src0_sel:WORD_1 src1_sel:DWORD
	v_cndmask_b32_e64 v12, 0, 1, vcc
	v_cmp_gt_i32_e32 vcc, 1, v11
	v_or_b32_e32 v12, v19, v12
	v_lshrrev_b32_e32 v9, 16, v9
	v_cndmask_b32_e32 v10, v15, v10, vcc
	v_cmp_gt_i32_e32 vcc, 1, v13
	v_and_b32_e32 v14, 7, v10
	v_cmp_eq_u32_e64 s[0:1], 3, v14
	v_cndmask_b32_e32 v12, v17, v12, vcc
	v_cmp_lt_i32_e32 vcc, 5, v14
	v_lshrrev_b32_e32 v10, 2, v10
	v_and_b32_e32 v15, 7, v12
	s_or_b64 vcc, s[0:1], vcc
	v_cmp_lt_i32_e64 s[2:3], 5, v15
	v_cmp_eq_u32_e64 s[4:5], 3, v15
	v_addc_co_u32_e32 v10, vcc, 0, v10, vcc
	v_lshrrev_b32_e32 v12, 2, v12
	s_or_b64 vcc, s[4:5], s[2:3]
	v_addc_co_u32_e32 v12, vcc, 0, v12, vcc
	v_cmp_gt_i32_e32 vcc, 31, v11
	s_nop 1
	v_cndmask_b32_e32 v10, v2, v10, vcc
	v_cmp_gt_i32_e32 vcc, 31, v13
	s_nop 1
	v_cndmask_b32_e32 v12, v2, v12, vcc
	v_cmp_eq_u32_e32 vcc, s10, v11
	s_nop 1
	v_cndmask_b32_e32 v4, v10, v4, vcc
	v_cmp_eq_u32_e32 vcc, s10, v13
	v_bitop3_b32 v4, v5, s13, v4 bitop3:0xc8
	s_nop 0
	v_cndmask_b32_e32 v8, v12, v8, vcc
	v_and_or_b32 v8, v9, s11, v8
	v_lshl_or_b32 v4, v8, 16, v4
	global_store_dword v[0:1], v4, off
	global_load_dword v8, v[40:41], off offset:1956
	ds_read2_b32 v[4:5], v3 offset0:105 offset1:180
	v_lshl_add_u64 v[0:1], v[0:1], 0, s[8:9]
	s_waitcnt lgkmcnt(0)
	v_lshrrev_b32_e32 v3, 16, v4
	s_waitcnt vmcnt(0)
	v_mul_f16_sdwa v9, v3, v8 dst_sel:DWORD dst_unused:UNUSED_PAD src0_sel:DWORD src1_sel:WORD_1
	v_mul_f16_sdwa v10, v4, v8 dst_sel:DWORD dst_unused:UNUSED_PAD src0_sel:DWORD src1_sel:WORD_1
	v_fma_f16 v4, v4, v8, v9
	v_fma_f16 v3, v8, v3, -v10
	v_cvt_f32_f16_e32 v4, v4
	v_cvt_f32_f16_e32 v3, v3
	v_cvt_f64_f32_e32 v[8:9], v4
	v_cvt_f64_f32_e32 v[10:11], v3
	v_mul_f64 v[8:9], v[8:9], s[6:7]
	v_mul_f64 v[10:11], v[10:11], s[6:7]
	v_and_or_b32 v3, v9, s14, v8
	v_and_or_b32 v10, v11, s14, v10
	v_cmp_ne_u32_e32 vcc, 0, v3
	v_lshrrev_b32_e32 v4, 8, v9
	v_bfe_u32 v8, v9, 20, 11
	v_cndmask_b32_e64 v3, 0, 1, vcc
	v_cmp_ne_u32_e32 vcc, 0, v10
	v_lshrrev_b32_e32 v12, 8, v11
	v_bfe_u32 v13, v11, 20, 11
	v_sub_u32_e32 v14, 0x3f1, v8
	v_cndmask_b32_e64 v10, 0, 1, vcc
	v_and_or_b32 v3, v4, s12, v3
	v_sub_u32_e32 v15, 0x3f1, v13
	v_med3_i32 v4, v14, 0, 13
	v_and_or_b32 v10, v12, s12, v10
	v_or_b32_e32 v14, 0x1000, v3
	v_add_u32_e32 v8, 0xfffffc10, v8
	v_med3_i32 v12, v15, 0, 13
	v_cmp_ne_u32_e32 vcc, 0, v3
	v_or_b32_e32 v16, 0x1000, v10
	v_lshrrev_b32_e32 v18, v4, v14
	v_add_u32_e32 v13, 0xfffffc10, v13
	v_lshl_or_b32 v15, v8, 12, v3
	v_cndmask_b32_e64 v3, 0, 1, vcc
	v_cmp_ne_u32_e32 vcc, 0, v10
	v_lshrrev_b32_e32 v19, v12, v16
	v_lshlrev_b32_e32 v4, v4, v18
	v_lshl_or_b32 v17, v13, 12, v10
	v_cndmask_b32_e64 v10, 0, 1, vcc
	v_lshlrev_b32_e32 v12, v12, v19
	v_cmp_ne_u32_e32 vcc, v4, v14
	v_lshl_or_b32 v3, v3, 9, v2
	v_lshl_or_b32 v10, v10, 9, v2
	v_cndmask_b32_e64 v4, 0, 1, vcc
	v_cmp_ne_u32_e32 vcc, v12, v16
	v_or_b32_e32 v4, v18, v4
	v_and_b32_sdwa v9, v9, s11 dst_sel:DWORD dst_unused:UNUSED_PAD src0_sel:WORD_1 src1_sel:DWORD
	v_cndmask_b32_e64 v12, 0, 1, vcc
	v_cmp_gt_i32_e32 vcc, 1, v8
	v_or_b32_e32 v12, v19, v12
	v_lshrrev_b32_e32 v11, 16, v11
	v_cndmask_b32_e32 v4, v15, v4, vcc
	v_cmp_gt_i32_e32 vcc, 1, v13
	v_and_b32_e32 v14, 7, v4
	v_cmp_eq_u32_e64 s[0:1], 3, v14
	v_cndmask_b32_e32 v12, v17, v12, vcc
	v_cmp_lt_i32_e32 vcc, 5, v14
	v_lshrrev_b32_e32 v4, 2, v4
	v_and_b32_e32 v15, 7, v12
	s_or_b64 vcc, s[0:1], vcc
	v_cmp_lt_i32_e64 s[2:3], 5, v15
	v_cmp_eq_u32_e64 s[4:5], 3, v15
	v_addc_co_u32_e32 v4, vcc, 0, v4, vcc
	v_lshrrev_b32_e32 v12, 2, v12
	s_or_b64 vcc, s[4:5], s[2:3]
	v_addc_co_u32_e32 v12, vcc, 0, v12, vcc
	v_cmp_gt_i32_e32 vcc, 31, v8
	s_nop 1
	v_cndmask_b32_e32 v4, v2, v4, vcc
	v_cmp_gt_i32_e32 vcc, 31, v13
	s_nop 1
	v_cndmask_b32_e32 v12, v2, v12, vcc
	v_cmp_eq_u32_e32 vcc, s10, v8
	s_nop 1
	v_cndmask_b32_e32 v3, v4, v3, vcc
	v_cmp_eq_u32_e32 vcc, s10, v13
	v_bitop3_b32 v3, v9, s13, v3 bitop3:0xc8
	s_nop 0
	v_cndmask_b32_e32 v4, v12, v10, vcc
	v_and_or_b32 v4, v11, s11, v4
	v_lshl_or_b32 v3, v4, 16, v3
	global_store_dword v[0:1], v3, off
	global_load_dword v3, v[40:41], off offset:2256
	v_lshrrev_b32_e32 v4, 16, v5
	v_lshl_add_u64 v[0:1], v[0:1], 0, s[8:9]
	s_waitcnt vmcnt(0)
	v_mul_f16_sdwa v8, v4, v3 dst_sel:DWORD dst_unused:UNUSED_PAD src0_sel:DWORD src1_sel:WORD_1
	v_mul_f16_sdwa v9, v5, v3 dst_sel:DWORD dst_unused:UNUSED_PAD src0_sel:DWORD src1_sel:WORD_1
	v_fma_f16 v5, v5, v3, v8
	v_fma_f16 v3, v3, v4, -v9
	v_cvt_f32_f16_e32 v4, v5
	v_cvt_f32_f16_e32 v3, v3
	v_cvt_f64_f32_e32 v[4:5], v4
	v_cvt_f64_f32_e32 v[8:9], v3
	v_mul_f64 v[4:5], v[4:5], s[6:7]
	v_mul_f64 v[8:9], v[8:9], s[6:7]
	v_and_or_b32 v3, v5, s14, v4
	v_and_or_b32 v8, v9, s14, v8
	v_cmp_ne_u32_e32 vcc, 0, v3
	v_lshrrev_b32_e32 v4, 8, v5
	v_bfe_u32 v10, v5, 20, 11
	v_cndmask_b32_e64 v3, 0, 1, vcc
	v_cmp_ne_u32_e32 vcc, 0, v8
	v_lshrrev_b32_e32 v11, 8, v9
	v_bfe_u32 v12, v9, 20, 11
	v_sub_u32_e32 v13, 0x3f1, v10
	v_cndmask_b32_e64 v8, 0, 1, vcc
	v_and_or_b32 v3, v4, s12, v3
	v_sub_u32_e32 v14, 0x3f1, v12
	v_med3_i32 v4, v13, 0, 13
	v_and_or_b32 v8, v11, s12, v8
	v_or_b32_e32 v13, 0x1000, v3
	v_add_u32_e32 v10, 0xfffffc10, v10
	v_med3_i32 v11, v14, 0, 13
	v_cmp_ne_u32_e32 vcc, 0, v3
	v_or_b32_e32 v15, 0x1000, v8
	v_lshrrev_b32_e32 v17, v4, v13
	v_add_u32_e32 v12, 0xfffffc10, v12
	v_lshl_or_b32 v14, v10, 12, v3
	v_cndmask_b32_e64 v3, 0, 1, vcc
	v_cmp_ne_u32_e32 vcc, 0, v8
	v_lshrrev_b32_e32 v18, v11, v15
	v_lshlrev_b32_e32 v4, v4, v17
	v_lshl_or_b32 v16, v12, 12, v8
	v_cndmask_b32_e64 v8, 0, 1, vcc
	v_lshlrev_b32_e32 v11, v11, v18
	v_cmp_ne_u32_e32 vcc, v4, v13
	v_lshl_or_b32 v3, v3, 9, v2
	v_lshl_or_b32 v8, v8, 9, v2
	v_cndmask_b32_e64 v4, 0, 1, vcc
	v_cmp_ne_u32_e32 vcc, v11, v15
	v_or_b32_e32 v4, v17, v4
	v_and_b32_sdwa v5, v5, s11 dst_sel:DWORD dst_unused:UNUSED_PAD src0_sel:WORD_1 src1_sel:DWORD
	v_cndmask_b32_e64 v11, 0, 1, vcc
	v_cmp_gt_i32_e32 vcc, 1, v10
	v_or_b32_e32 v11, v18, v11
	v_lshrrev_b32_e32 v9, 16, v9
	v_cndmask_b32_e32 v4, v14, v4, vcc
	v_cmp_gt_i32_e32 vcc, 1, v12
	v_and_b32_e32 v13, 7, v4
	v_cmp_eq_u32_e64 s[0:1], 3, v13
	v_cndmask_b32_e32 v11, v16, v11, vcc
	v_cmp_lt_i32_e32 vcc, 5, v13
	v_lshrrev_b32_e32 v4, 2, v4
	v_and_b32_e32 v14, 7, v11
	s_or_b64 vcc, s[0:1], vcc
	v_cmp_lt_i32_e64 s[2:3], 5, v14
	v_cmp_eq_u32_e64 s[4:5], 3, v14
	v_addc_co_u32_e32 v4, vcc, 0, v4, vcc
	v_lshrrev_b32_e32 v11, 2, v11
	s_or_b64 vcc, s[4:5], s[2:3]
	v_addc_co_u32_e32 v11, vcc, 0, v11, vcc
	v_cmp_gt_i32_e32 vcc, 31, v10
	s_nop 1
	v_cndmask_b32_e32 v4, v2, v4, vcc
	v_cmp_gt_i32_e32 vcc, 31, v12
	s_nop 1
	v_cndmask_b32_e32 v11, v2, v11, vcc
	v_cmp_eq_u32_e32 vcc, s10, v10
	s_nop 1
	v_cndmask_b32_e32 v3, v4, v3, vcc
	v_cmp_eq_u32_e32 vcc, s10, v12
	v_bitop3_b32 v3, v5, s13, v3 bitop3:0xc8
	s_nop 0
	v_cndmask_b32_e32 v4, v11, v8, vcc
	v_and_or_b32 v4, v9, s11, v4
	v_lshl_or_b32 v3, v4, 16, v3
	global_store_dword v[0:1], v3, off
	global_load_dword v3, v[40:41], off offset:2556
	ds_read2_b32 v[4:5], v7 offset0:127 offset1:202
	v_lshl_add_u64 v[0:1], v[0:1], 0, s[8:9]
	s_waitcnt lgkmcnt(0)
	v_lshrrev_b32_e32 v7, 16, v4
	s_waitcnt vmcnt(0)
	v_mul_f16_sdwa v8, v7, v3 dst_sel:DWORD dst_unused:UNUSED_PAD src0_sel:DWORD src1_sel:WORD_1
	v_mul_f16_sdwa v9, v4, v3 dst_sel:DWORD dst_unused:UNUSED_PAD src0_sel:DWORD src1_sel:WORD_1
	v_fma_f16 v4, v4, v3, v8
	v_fma_f16 v3, v3, v7, -v9
	v_cvt_f32_f16_e32 v4, v4
	v_cvt_f32_f16_e32 v3, v3
	v_cvt_f64_f32_e32 v[8:9], v4
	v_cvt_f64_f32_e32 v[10:11], v3
	v_mul_f64 v[8:9], v[8:9], s[6:7]
	v_mul_f64 v[10:11], v[10:11], s[6:7]
	v_and_or_b32 v3, v9, s14, v8
	v_lshrrev_b32_e32 v4, 8, v9
	v_bfe_u32 v7, v9, 20, 11
	v_and_b32_sdwa v8, v9, s11 dst_sel:DWORD dst_unused:UNUSED_PAD src0_sel:WORD_1 src1_sel:DWORD
	v_and_or_b32 v9, v11, s14, v10
	v_cmp_ne_u32_e32 vcc, 0, v3
	v_lshrrev_b32_e32 v10, 8, v11
	v_bfe_u32 v12, v11, 20, 11
	v_cndmask_b32_e64 v3, 0, 1, vcc
	v_cmp_ne_u32_e32 vcc, 0, v9
	v_sub_u32_e32 v13, 0x3f1, v7
	v_and_or_b32 v3, v4, s12, v3
	v_cndmask_b32_e64 v9, 0, 1, vcc
	v_sub_u32_e32 v14, 0x3f1, v12
	v_med3_i32 v4, v13, 0, 13
	v_and_or_b32 v9, v10, s12, v9
	v_or_b32_e32 v13, 0x1000, v3
	v_add_u32_e32 v7, 0xfffffc10, v7
	v_med3_i32 v10, v14, 0, 13
	v_cmp_ne_u32_e32 vcc, 0, v3
	v_or_b32_e32 v15, 0x1000, v9
	v_lshrrev_b32_e32 v17, v4, v13
	v_add_u32_e32 v12, 0xfffffc10, v12
	v_lshl_or_b32 v14, v7, 12, v3
	v_cndmask_b32_e64 v3, 0, 1, vcc
	v_cmp_ne_u32_e32 vcc, 0, v9
	v_lshrrev_b32_e32 v18, v10, v15
	v_lshlrev_b32_e32 v4, v4, v17
	v_lshl_or_b32 v16, v12, 12, v9
	v_cndmask_b32_e64 v9, 0, 1, vcc
	v_lshlrev_b32_e32 v10, v10, v18
	v_cmp_ne_u32_e32 vcc, v4, v13
	v_lshl_or_b32 v3, v3, 9, v2
	v_lshl_or_b32 v9, v9, 9, v2
	v_cndmask_b32_e64 v4, 0, 1, vcc
	v_cmp_ne_u32_e32 vcc, v10, v15
	v_or_b32_e32 v4, v17, v4
	v_lshrrev_b32_e32 v11, 16, v11
	v_cndmask_b32_e64 v10, 0, 1, vcc
	v_cmp_gt_i32_e32 vcc, 1, v7
	v_or_b32_e32 v10, v18, v10
	s_nop 0
	v_cndmask_b32_e32 v4, v14, v4, vcc
	v_cmp_gt_i32_e32 vcc, 1, v12
	v_and_b32_e32 v13, 7, v4
	v_cmp_eq_u32_e64 s[0:1], 3, v13
	v_cndmask_b32_e32 v10, v16, v10, vcc
	v_cmp_lt_i32_e32 vcc, 5, v13
	v_lshrrev_b32_e32 v4, 2, v4
	v_and_b32_e32 v14, 7, v10
	s_or_b64 vcc, s[0:1], vcc
	v_cmp_lt_i32_e64 s[2:3], 5, v14
	v_cmp_eq_u32_e64 s[4:5], 3, v14
	v_addc_co_u32_e32 v4, vcc, 0, v4, vcc
	v_lshrrev_b32_e32 v10, 2, v10
	s_or_b64 vcc, s[4:5], s[2:3]
	v_addc_co_u32_e32 v10, vcc, 0, v10, vcc
	v_cmp_gt_i32_e32 vcc, 31, v7
	s_nop 1
	v_cndmask_b32_e32 v4, v2, v4, vcc
	v_cmp_gt_i32_e32 vcc, 31, v12
	s_nop 1
	v_cndmask_b32_e32 v10, v2, v10, vcc
	v_cmp_eq_u32_e32 vcc, s10, v7
	s_nop 1
	v_cndmask_b32_e32 v3, v4, v3, vcc
	v_cmp_eq_u32_e32 vcc, s10, v12
	v_bitop3_b32 v3, v8, s13, v3 bitop3:0xc8
	s_nop 0
	v_cndmask_b32_e32 v4, v10, v9, vcc
	v_and_or_b32 v4, v11, s11, v4
	v_lshl_or_b32 v3, v4, 16, v3
	global_store_dword v[0:1], v3, off
	global_load_dword v3, v[40:41], off offset:2856
	v_lshrrev_b32_e32 v4, 16, v5
	v_lshl_add_u64 v[0:1], v[0:1], 0, s[8:9]
	s_waitcnt vmcnt(0)
	v_mul_f16_sdwa v7, v4, v3 dst_sel:DWORD dst_unused:UNUSED_PAD src0_sel:DWORD src1_sel:WORD_1
	v_mul_f16_sdwa v8, v5, v3 dst_sel:DWORD dst_unused:UNUSED_PAD src0_sel:DWORD src1_sel:WORD_1
	v_fma_f16 v5, v5, v3, v7
	v_fma_f16 v3, v3, v4, -v8
	v_cvt_f32_f16_e32 v4, v5
	v_cvt_f32_f16_e32 v3, v3
	v_cvt_f64_f32_e32 v[4:5], v4
	v_cvt_f64_f32_e32 v[8:9], v3
	v_mul_f64 v[4:5], v[4:5], s[6:7]
	v_mul_f64 v[8:9], v[8:9], s[6:7]
	v_and_or_b32 v3, v5, s14, v4
	v_and_or_b32 v8, v9, s14, v8
	v_cmp_ne_u32_e32 vcc, 0, v3
	v_lshrrev_b32_e32 v4, 8, v5
	v_bfe_u32 v7, v5, 20, 11
	v_cndmask_b32_e64 v3, 0, 1, vcc
	v_cmp_ne_u32_e32 vcc, 0, v8
	v_lshrrev_b32_e32 v10, 8, v9
	v_bfe_u32 v11, v9, 20, 11
	v_sub_u32_e32 v12, 0x3f1, v7
	v_cndmask_b32_e64 v8, 0, 1, vcc
	v_and_or_b32 v3, v4, s12, v3
	v_sub_u32_e32 v13, 0x3f1, v11
	v_med3_i32 v4, v12, 0, 13
	v_and_or_b32 v8, v10, s12, v8
	v_or_b32_e32 v12, 0x1000, v3
	v_add_u32_e32 v7, 0xfffffc10, v7
	v_med3_i32 v10, v13, 0, 13
	v_cmp_ne_u32_e32 vcc, 0, v3
	v_or_b32_e32 v14, 0x1000, v8
	v_lshrrev_b32_e32 v16, v4, v12
	v_add_u32_e32 v11, 0xfffffc10, v11
	v_lshl_or_b32 v13, v7, 12, v3
	v_cndmask_b32_e64 v3, 0, 1, vcc
	v_cmp_ne_u32_e32 vcc, 0, v8
	v_lshrrev_b32_e32 v17, v10, v14
	v_lshlrev_b32_e32 v4, v4, v16
	v_lshl_or_b32 v15, v11, 12, v8
	v_cndmask_b32_e64 v8, 0, 1, vcc
	v_lshlrev_b32_e32 v10, v10, v17
	v_cmp_ne_u32_e32 vcc, v4, v12
	v_lshl_or_b32 v3, v3, 9, v2
	v_lshl_or_b32 v8, v8, 9, v2
	v_cndmask_b32_e64 v4, 0, 1, vcc
	v_cmp_ne_u32_e32 vcc, v10, v14
	v_or_b32_e32 v4, v16, v4
	v_and_b32_sdwa v5, v5, s11 dst_sel:DWORD dst_unused:UNUSED_PAD src0_sel:WORD_1 src1_sel:DWORD
	v_cndmask_b32_e64 v10, 0, 1, vcc
	v_cmp_gt_i32_e32 vcc, 1, v7
	v_or_b32_e32 v10, v17, v10
	v_lshrrev_b32_e32 v9, 16, v9
	v_cndmask_b32_e32 v4, v13, v4, vcc
	v_cmp_gt_i32_e32 vcc, 1, v11
	v_and_b32_e32 v12, 7, v4
	v_cmp_eq_u32_e64 s[0:1], 3, v12
	v_cndmask_b32_e32 v10, v15, v10, vcc
	v_cmp_lt_i32_e32 vcc, 5, v12
	v_lshrrev_b32_e32 v4, 2, v4
	v_and_b32_e32 v13, 7, v10
	s_or_b64 vcc, s[0:1], vcc
	v_cmp_lt_i32_e64 s[2:3], 5, v13
	v_cmp_eq_u32_e64 s[4:5], 3, v13
	v_addc_co_u32_e32 v4, vcc, 0, v4, vcc
	v_lshrrev_b32_e32 v10, 2, v10
	s_or_b64 vcc, s[4:5], s[2:3]
	v_addc_co_u32_e32 v10, vcc, 0, v10, vcc
	v_cmp_gt_i32_e32 vcc, 31, v7
	s_nop 1
	v_cndmask_b32_e32 v4, v2, v4, vcc
	v_cmp_gt_i32_e32 vcc, 31, v11
	s_nop 1
	v_cndmask_b32_e32 v10, v2, v10, vcc
	v_cmp_eq_u32_e32 vcc, s10, v7
	s_nop 1
	v_cndmask_b32_e32 v3, v4, v3, vcc
	v_cmp_eq_u32_e32 vcc, s10, v11
	v_bitop3_b32 v3, v5, s13, v3 bitop3:0xc8
	s_nop 0
	v_cndmask_b32_e32 v4, v10, v8, vcc
	v_and_or_b32 v4, v9, s11, v4
	v_lshl_or_b32 v3, v4, 16, v3
	global_store_dword v[0:1], v3, off
	global_load_dword v3, v[40:41], off offset:3156
	ds_read2_b32 v[4:5], v6 offset0:21 offset1:96
	v_lshl_add_u64 v[0:1], v[0:1], 0, s[8:9]
	s_waitcnt lgkmcnt(0)
	v_lshrrev_b32_e32 v6, 16, v4
	s_waitcnt vmcnt(0)
	v_mul_f16_sdwa v7, v6, v3 dst_sel:DWORD dst_unused:UNUSED_PAD src0_sel:DWORD src1_sel:WORD_1
	v_mul_f16_sdwa v8, v4, v3 dst_sel:DWORD dst_unused:UNUSED_PAD src0_sel:DWORD src1_sel:WORD_1
	v_fma_f16 v4, v4, v3, v7
	v_fma_f16 v3, v3, v6, -v8
	v_cvt_f32_f16_e32 v4, v4
	v_cvt_f32_f16_e32 v3, v3
	v_cvt_f64_f32_e32 v[6:7], v4
	v_cvt_f64_f32_e32 v[8:9], v3
	v_mul_f64 v[6:7], v[6:7], s[6:7]
	v_mul_f64 v[8:9], v[8:9], s[6:7]
	v_and_or_b32 v3, v7, s14, v6
	v_and_or_b32 v8, v9, s14, v8
	v_cmp_ne_u32_e32 vcc, 0, v3
	v_lshrrev_b32_e32 v4, 8, v7
	v_bfe_u32 v6, v7, 20, 11
	v_cndmask_b32_e64 v3, 0, 1, vcc
	v_cmp_ne_u32_e32 vcc, 0, v8
	v_lshrrev_b32_e32 v10, 8, v9
	v_bfe_u32 v11, v9, 20, 11
	v_sub_u32_e32 v12, 0x3f1, v6
	v_cndmask_b32_e64 v8, 0, 1, vcc
	v_and_or_b32 v3, v4, s12, v3
	v_sub_u32_e32 v13, 0x3f1, v11
	v_med3_i32 v4, v12, 0, 13
	v_and_or_b32 v8, v10, s12, v8
	v_or_b32_e32 v12, 0x1000, v3
	v_add_u32_e32 v6, 0xfffffc10, v6
	v_med3_i32 v10, v13, 0, 13
	v_cmp_ne_u32_e32 vcc, 0, v3
	v_or_b32_e32 v14, 0x1000, v8
	v_lshrrev_b32_e32 v16, v4, v12
	v_add_u32_e32 v11, 0xfffffc10, v11
	v_lshl_or_b32 v13, v6, 12, v3
	v_cndmask_b32_e64 v3, 0, 1, vcc
	v_cmp_ne_u32_e32 vcc, 0, v8
	v_lshrrev_b32_e32 v17, v10, v14
	v_lshlrev_b32_e32 v4, v4, v16
	v_lshl_or_b32 v15, v11, 12, v8
	v_cndmask_b32_e64 v8, 0, 1, vcc
	v_lshlrev_b32_e32 v10, v10, v17
	v_cmp_ne_u32_e32 vcc, v4, v12
	v_lshl_or_b32 v3, v3, 9, v2
	v_lshl_or_b32 v8, v8, 9, v2
	v_cndmask_b32_e64 v4, 0, 1, vcc
	v_cmp_ne_u32_e32 vcc, v10, v14
	v_or_b32_e32 v4, v16, v4
	v_and_b32_sdwa v7, v7, s11 dst_sel:DWORD dst_unused:UNUSED_PAD src0_sel:WORD_1 src1_sel:DWORD
	v_cndmask_b32_e64 v10, 0, 1, vcc
	v_cmp_gt_i32_e32 vcc, 1, v6
	v_or_b32_e32 v10, v17, v10
	v_lshrrev_b32_e32 v9, 16, v9
	v_cndmask_b32_e32 v4, v13, v4, vcc
	v_cmp_gt_i32_e32 vcc, 1, v11
	v_and_b32_e32 v12, 7, v4
	v_cmp_eq_u32_e64 s[0:1], 3, v12
	v_cndmask_b32_e32 v10, v15, v10, vcc
	v_cmp_lt_i32_e32 vcc, 5, v12
	v_lshrrev_b32_e32 v4, 2, v4
	v_and_b32_e32 v13, 7, v10
	s_or_b64 vcc, s[0:1], vcc
	v_cmp_lt_i32_e64 s[2:3], 5, v13
	v_cmp_eq_u32_e64 s[4:5], 3, v13
	v_addc_co_u32_e32 v4, vcc, 0, v4, vcc
	v_lshrrev_b32_e32 v10, 2, v10
	s_or_b64 vcc, s[4:5], s[2:3]
	v_addc_co_u32_e32 v10, vcc, 0, v10, vcc
	v_cmp_gt_i32_e32 vcc, 31, v6
	s_nop 1
	v_cndmask_b32_e32 v4, v2, v4, vcc
	v_cmp_gt_i32_e32 vcc, 31, v11
	s_nop 1
	v_cndmask_b32_e32 v10, v2, v10, vcc
	v_cmp_eq_u32_e32 vcc, s10, v6
	s_nop 1
	v_cndmask_b32_e32 v3, v4, v3, vcc
	v_cmp_eq_u32_e32 vcc, s10, v11
	v_bitop3_b32 v3, v7, s13, v3 bitop3:0xc8
	s_nop 0
	v_cndmask_b32_e32 v4, v10, v8, vcc
	v_and_or_b32 v4, v9, s11, v4
	v_lshl_or_b32 v3, v4, 16, v3
	global_store_dword v[0:1], v3, off
	global_load_dword v3, v[40:41], off offset:3456
	v_lshrrev_b32_e32 v4, 16, v5
	v_lshl_add_u64 v[0:1], v[0:1], 0, s[8:9]
	s_waitcnt vmcnt(0)
	v_mul_f16_sdwa v6, v4, v3 dst_sel:DWORD dst_unused:UNUSED_PAD src0_sel:DWORD src1_sel:WORD_1
	v_mul_f16_sdwa v7, v5, v3 dst_sel:DWORD dst_unused:UNUSED_PAD src0_sel:DWORD src1_sel:WORD_1
	v_fma_f16 v5, v5, v3, v6
	v_fma_f16 v3, v3, v4, -v7
	v_cvt_f32_f16_e32 v4, v5
	v_cvt_f32_f16_e32 v3, v3
	v_cvt_f64_f32_e32 v[4:5], v4
	v_cvt_f64_f32_e32 v[6:7], v3
	v_mul_f64 v[4:5], v[4:5], s[6:7]
	v_mul_f64 v[6:7], v[6:7], s[6:7]
	v_and_or_b32 v3, v5, s14, v4
	v_and_or_b32 v6, v7, s14, v6
	v_cmp_ne_u32_e32 vcc, 0, v3
	v_lshrrev_b32_e32 v4, 8, v5
	v_bfe_u32 v8, v5, 20, 11
	v_cndmask_b32_e64 v3, 0, 1, vcc
	v_cmp_ne_u32_e32 vcc, 0, v6
	v_lshrrev_b32_e32 v9, 8, v7
	v_bfe_u32 v10, v7, 20, 11
	v_sub_u32_e32 v11, 0x3f1, v8
	v_cndmask_b32_e64 v6, 0, 1, vcc
	v_and_or_b32 v3, v4, s12, v3
	v_sub_u32_e32 v12, 0x3f1, v10
	v_med3_i32 v4, v11, 0, 13
	v_and_or_b32 v6, v9, s12, v6
	v_or_b32_e32 v11, 0x1000, v3
	v_add_u32_e32 v8, 0xfffffc10, v8
	v_med3_i32 v9, v12, 0, 13
	v_cmp_ne_u32_e32 vcc, 0, v3
	v_or_b32_e32 v13, 0x1000, v6
	v_lshrrev_b32_e32 v15, v4, v11
	v_add_u32_e32 v10, 0xfffffc10, v10
	v_lshl_or_b32 v12, v8, 12, v3
	v_cndmask_b32_e64 v3, 0, 1, vcc
	v_cmp_ne_u32_e32 vcc, 0, v6
	v_lshrrev_b32_e32 v16, v9, v13
	v_lshlrev_b32_e32 v4, v4, v15
	v_lshl_or_b32 v14, v10, 12, v6
	v_cndmask_b32_e64 v6, 0, 1, vcc
	v_lshlrev_b32_e32 v9, v9, v16
	v_cmp_ne_u32_e32 vcc, v4, v11
	v_lshl_or_b32 v3, v3, 9, v2
	v_lshl_or_b32 v6, v6, 9, v2
	v_cndmask_b32_e64 v4, 0, 1, vcc
	v_cmp_ne_u32_e32 vcc, v9, v13
	v_or_b32_e32 v4, v15, v4
	v_and_b32_sdwa v5, v5, s11 dst_sel:DWORD dst_unused:UNUSED_PAD src0_sel:WORD_1 src1_sel:DWORD
	v_cndmask_b32_e64 v9, 0, 1, vcc
	v_cmp_gt_i32_e32 vcc, 1, v8
	v_or_b32_e32 v9, v16, v9
	v_lshrrev_b32_e32 v7, 16, v7
	v_cndmask_b32_e32 v4, v12, v4, vcc
	v_cmp_gt_i32_e32 vcc, 1, v10
	v_and_b32_e32 v11, 7, v4
	v_cmp_eq_u32_e64 s[0:1], 3, v11
	v_cndmask_b32_e32 v9, v14, v9, vcc
	v_cmp_lt_i32_e32 vcc, 5, v11
	v_lshrrev_b32_e32 v4, 2, v4
	v_and_b32_e32 v12, 7, v9
	s_or_b64 vcc, s[0:1], vcc
	v_cmp_lt_i32_e64 s[2:3], 5, v12
	v_cmp_eq_u32_e64 s[4:5], 3, v12
	v_addc_co_u32_e32 v4, vcc, 0, v4, vcc
	v_lshrrev_b32_e32 v9, 2, v9
	s_or_b64 vcc, s[4:5], s[2:3]
	v_addc_co_u32_e32 v9, vcc, 0, v9, vcc
	v_cmp_gt_i32_e32 vcc, 31, v8
	s_nop 1
	v_cndmask_b32_e32 v4, v2, v4, vcc
	v_cmp_gt_i32_e32 vcc, 31, v10
	s_nop 1
	v_cndmask_b32_e32 v9, v2, v9, vcc
	v_cmp_eq_u32_e32 vcc, s10, v8
	s_nop 1
	v_cndmask_b32_e32 v3, v4, v3, vcc
	v_cmp_eq_u32_e32 vcc, s10, v10
	v_bitop3_b32 v3, v5, s13, v3 bitop3:0xc8
	s_nop 0
	v_cndmask_b32_e32 v4, v9, v6, vcc
	v_and_or_b32 v4, v7, s11, v4
	v_lshl_or_b32 v3, v4, 16, v3
	global_store_dword v[0:1], v3, off
	global_load_dword v3, v[40:41], off offset:3756
	ds_read_b32 v4, v45 offset:3756
	v_lshl_add_u64 v[0:1], v[0:1], 0, s[8:9]
	s_waitcnt lgkmcnt(0)
	v_lshrrev_b32_e32 v5, 16, v4
	s_waitcnt vmcnt(0)
	v_mul_f16_sdwa v6, v5, v3 dst_sel:DWORD dst_unused:UNUSED_PAD src0_sel:DWORD src1_sel:WORD_1
	v_mul_f16_sdwa v7, v4, v3 dst_sel:DWORD dst_unused:UNUSED_PAD src0_sel:DWORD src1_sel:WORD_1
	v_fma_f16 v4, v4, v3, v6
	v_fma_f16 v3, v3, v5, -v7
	v_cvt_f32_f16_e32 v4, v4
	v_cvt_f32_f16_e32 v3, v3
	v_cvt_f64_f32_e32 v[4:5], v4
	v_cvt_f64_f32_e32 v[6:7], v3
	v_mul_f64 v[4:5], v[4:5], s[6:7]
	v_mul_f64 v[6:7], v[6:7], s[6:7]
	v_and_or_b32 v3, v5, s14, v4
	v_and_or_b32 v6, v7, s14, v6
	v_cmp_ne_u32_e32 vcc, 0, v3
	v_lshrrev_b32_e32 v4, 8, v5
	v_bfe_u32 v8, v5, 20, 11
	v_cndmask_b32_e64 v3, 0, 1, vcc
	v_cmp_ne_u32_e32 vcc, 0, v6
	v_lshrrev_b32_e32 v9, 8, v7
	v_bfe_u32 v10, v7, 20, 11
	v_sub_u32_e32 v11, 0x3f1, v8
	v_cndmask_b32_e64 v6, 0, 1, vcc
	v_and_or_b32 v3, v4, s12, v3
	v_sub_u32_e32 v12, 0x3f1, v10
	v_med3_i32 v4, v11, 0, 13
	v_and_or_b32 v6, v9, s12, v6
	v_or_b32_e32 v11, 0x1000, v3
	v_add_u32_e32 v8, 0xfffffc10, v8
	v_med3_i32 v9, v12, 0, 13
	v_cmp_ne_u32_e32 vcc, 0, v3
	v_or_b32_e32 v13, 0x1000, v6
	v_lshrrev_b32_e32 v15, v4, v11
	v_add_u32_e32 v10, 0xfffffc10, v10
	v_lshl_or_b32 v12, v8, 12, v3
	v_cndmask_b32_e64 v3, 0, 1, vcc
	v_cmp_ne_u32_e32 vcc, 0, v6
	v_lshrrev_b32_e32 v16, v9, v13
	v_lshlrev_b32_e32 v4, v4, v15
	v_lshl_or_b32 v14, v10, 12, v6
	v_cndmask_b32_e64 v6, 0, 1, vcc
	v_lshlrev_b32_e32 v9, v9, v16
	v_cmp_ne_u32_e32 vcc, v4, v11
	v_lshl_or_b32 v3, v3, 9, v2
	v_lshl_or_b32 v6, v6, 9, v2
	v_cndmask_b32_e64 v4, 0, 1, vcc
	v_cmp_ne_u32_e32 vcc, v9, v13
	v_or_b32_e32 v4, v15, v4
	v_and_b32_sdwa v5, v5, s11 dst_sel:DWORD dst_unused:UNUSED_PAD src0_sel:WORD_1 src1_sel:DWORD
	v_cndmask_b32_e64 v9, 0, 1, vcc
	v_cmp_gt_i32_e32 vcc, 1, v8
	v_or_b32_e32 v9, v16, v9
	v_lshrrev_b32_e32 v7, 16, v7
	v_cndmask_b32_e32 v4, v12, v4, vcc
	v_cmp_gt_i32_e32 vcc, 1, v10
	v_and_b32_e32 v11, 7, v4
	v_cmp_eq_u32_e64 s[0:1], 3, v11
	v_cndmask_b32_e32 v9, v14, v9, vcc
	v_cmp_lt_i32_e32 vcc, 5, v11
	v_lshrrev_b32_e32 v4, 2, v4
	v_and_b32_e32 v12, 7, v9
	s_or_b64 vcc, s[0:1], vcc
	v_cmp_lt_i32_e64 s[2:3], 5, v12
	v_cmp_eq_u32_e64 s[4:5], 3, v12
	v_addc_co_u32_e32 v4, vcc, 0, v4, vcc
	v_lshrrev_b32_e32 v9, 2, v9
	s_or_b64 vcc, s[4:5], s[2:3]
	v_addc_co_u32_e32 v9, vcc, 0, v9, vcc
	v_cmp_gt_i32_e32 vcc, 31, v8
	s_nop 1
	v_cndmask_b32_e32 v4, v2, v4, vcc
	v_cmp_gt_i32_e32 vcc, 31, v10
	s_nop 1
	v_cndmask_b32_e32 v2, v2, v9, vcc
	v_cmp_eq_u32_e32 vcc, s10, v8
	s_nop 1
	v_cndmask_b32_e32 v3, v4, v3, vcc
	v_cmp_eq_u32_e32 vcc, s10, v10
	v_bitop3_b32 v3, v5, s13, v3 bitop3:0xc8
	s_nop 0
	v_cndmask_b32_e32 v2, v2, v6, vcc
	v_and_or_b32 v2, v7, s11, v2
	v_lshl_or_b32 v2, v2, 16, v3
	global_store_dword v[0:1], v2, off
.LBB0_23:
	s_endpgm
	.section	.rodata,"a",@progbits
	.p2align	6, 0x0
	.amdhsa_kernel bluestein_single_fwd_len975_dim1_half_op_CI_CI
		.amdhsa_group_segment_fixed_size 11700
		.amdhsa_private_segment_fixed_size 0
		.amdhsa_kernarg_size 104
		.amdhsa_user_sgpr_count 2
		.amdhsa_user_sgpr_dispatch_ptr 0
		.amdhsa_user_sgpr_queue_ptr 0
		.amdhsa_user_sgpr_kernarg_segment_ptr 1
		.amdhsa_user_sgpr_dispatch_id 0
		.amdhsa_user_sgpr_kernarg_preload_length 0
		.amdhsa_user_sgpr_kernarg_preload_offset 0
		.amdhsa_user_sgpr_private_segment_size 0
		.amdhsa_uses_dynamic_stack 0
		.amdhsa_enable_private_segment 0
		.amdhsa_system_sgpr_workgroup_id_x 1
		.amdhsa_system_sgpr_workgroup_id_y 0
		.amdhsa_system_sgpr_workgroup_id_z 0
		.amdhsa_system_sgpr_workgroup_info 0
		.amdhsa_system_vgpr_workitem_id 0
		.amdhsa_next_free_vgpr 228
		.amdhsa_next_free_sgpr 28
		.amdhsa_accum_offset 228
		.amdhsa_reserve_vcc 1
		.amdhsa_float_round_mode_32 0
		.amdhsa_float_round_mode_16_64 0
		.amdhsa_float_denorm_mode_32 3
		.amdhsa_float_denorm_mode_16_64 3
		.amdhsa_dx10_clamp 1
		.amdhsa_ieee_mode 1
		.amdhsa_fp16_overflow 0
		.amdhsa_tg_split 0
		.amdhsa_exception_fp_ieee_invalid_op 0
		.amdhsa_exception_fp_denorm_src 0
		.amdhsa_exception_fp_ieee_div_zero 0
		.amdhsa_exception_fp_ieee_overflow 0
		.amdhsa_exception_fp_ieee_underflow 0
		.amdhsa_exception_fp_ieee_inexact 0
		.amdhsa_exception_int_div_zero 0
	.end_amdhsa_kernel
	.text
.Lfunc_end0:
	.size	bluestein_single_fwd_len975_dim1_half_op_CI_CI, .Lfunc_end0-bluestein_single_fwd_len975_dim1_half_op_CI_CI
                                        ; -- End function
	.section	.AMDGPU.csdata,"",@progbits
; Kernel info:
; codeLenInByte = 47348
; NumSgprs: 34
; NumVgprs: 228
; NumAgprs: 0
; TotalNumVgprs: 228
; ScratchSize: 0
; MemoryBound: 0
; FloatMode: 240
; IeeeMode: 1
; LDSByteSize: 11700 bytes/workgroup (compile time only)
; SGPRBlocks: 4
; VGPRBlocks: 28
; NumSGPRsForWavesPerEU: 34
; NumVGPRsForWavesPerEU: 228
; AccumOffset: 228
; Occupancy: 2
; WaveLimiterHint : 1
; COMPUTE_PGM_RSRC2:SCRATCH_EN: 0
; COMPUTE_PGM_RSRC2:USER_SGPR: 2
; COMPUTE_PGM_RSRC2:TRAP_HANDLER: 0
; COMPUTE_PGM_RSRC2:TGID_X_EN: 1
; COMPUTE_PGM_RSRC2:TGID_Y_EN: 0
; COMPUTE_PGM_RSRC2:TGID_Z_EN: 0
; COMPUTE_PGM_RSRC2:TIDIG_COMP_CNT: 0
; COMPUTE_PGM_RSRC3_GFX90A:ACCUM_OFFSET: 56
; COMPUTE_PGM_RSRC3_GFX90A:TG_SPLIT: 0
	.text
	.p2alignl 6, 3212836864
	.fill 256, 4, 3212836864
	.type	__hip_cuid_d4ba04df6e4d385f,@object ; @__hip_cuid_d4ba04df6e4d385f
	.section	.bss,"aw",@nobits
	.globl	__hip_cuid_d4ba04df6e4d385f
__hip_cuid_d4ba04df6e4d385f:
	.byte	0                               ; 0x0
	.size	__hip_cuid_d4ba04df6e4d385f, 1

	.ident	"AMD clang version 19.0.0git (https://github.com/RadeonOpenCompute/llvm-project roc-6.4.0 25133 c7fe45cf4b819c5991fe208aaa96edf142730f1d)"
	.section	".note.GNU-stack","",@progbits
	.addrsig
	.addrsig_sym __hip_cuid_d4ba04df6e4d385f
	.amdgpu_metadata
---
amdhsa.kernels:
  - .agpr_count:     0
    .args:
      - .actual_access:  read_only
        .address_space:  global
        .offset:         0
        .size:           8
        .value_kind:     global_buffer
      - .actual_access:  read_only
        .address_space:  global
        .offset:         8
        .size:           8
        .value_kind:     global_buffer
      - .actual_access:  read_only
        .address_space:  global
        .offset:         16
        .size:           8
        .value_kind:     global_buffer
      - .actual_access:  read_only
        .address_space:  global
        .offset:         24
        .size:           8
        .value_kind:     global_buffer
      - .actual_access:  read_only
        .address_space:  global
        .offset:         32
        .size:           8
        .value_kind:     global_buffer
      - .offset:         40
        .size:           8
        .value_kind:     by_value
      - .address_space:  global
        .offset:         48
        .size:           8
        .value_kind:     global_buffer
      - .address_space:  global
        .offset:         56
        .size:           8
        .value_kind:     global_buffer
      - .address_space:  global
        .offset:         64
        .size:           8
        .value_kind:     global_buffer
      - .address_space:  global
        .offset:         72
        .size:           8
        .value_kind:     global_buffer
      - .offset:         80
        .size:           4
        .value_kind:     by_value
      - .address_space:  global
        .offset:         88
        .size:           8
        .value_kind:     global_buffer
      - .address_space:  global
        .offset:         96
        .size:           8
        .value_kind:     global_buffer
    .group_segment_fixed_size: 11700
    .kernarg_segment_align: 8
    .kernarg_segment_size: 104
    .language:       OpenCL C
    .language_version:
      - 2
      - 0
    .max_flat_workgroup_size: 117
    .name:           bluestein_single_fwd_len975_dim1_half_op_CI_CI
    .private_segment_fixed_size: 0
    .sgpr_count:     34
    .sgpr_spill_count: 0
    .symbol:         bluestein_single_fwd_len975_dim1_half_op_CI_CI.kd
    .uniform_work_group_size: 1
    .uses_dynamic_stack: false
    .vgpr_count:     228
    .vgpr_spill_count: 0
    .wavefront_size: 64
amdhsa.target:   amdgcn-amd-amdhsa--gfx950
amdhsa.version:
  - 1
  - 2
...

	.end_amdgpu_metadata
